;; amdgpu-corpus repo=ROCm/rocFFT kind=compiled arch=gfx1201 opt=O3
	.text
	.amdgcn_target "amdgcn-amd-amdhsa--gfx1201"
	.amdhsa_code_object_version 6
	.protected	bluestein_single_fwd_len1920_dim1_sp_op_CI_CI ; -- Begin function bluestein_single_fwd_len1920_dim1_sp_op_CI_CI
	.globl	bluestein_single_fwd_len1920_dim1_sp_op_CI_CI
	.p2align	8
	.type	bluestein_single_fwd_len1920_dim1_sp_op_CI_CI,@function
bluestein_single_fwd_len1920_dim1_sp_op_CI_CI: ; @bluestein_single_fwd_len1920_dim1_sp_op_CI_CI
; %bb.0:
	s_load_b128 s[12:15], s[0:1], 0x28
	v_mul_u32_u24_e32 v1, 0x223, v0
	v_mov_b32_e32 v91, 0
	s_mov_b32 s2, exec_lo
	s_delay_alu instid0(VALU_DEP_2) | instskip(NEXT) | instid1(VALU_DEP_1)
	v_lshrrev_b32_e32 v2, 16, v1
	v_lshl_add_u32 v90, ttmp9, 1, v2
	s_wait_kmcnt 0x0
	s_delay_alu instid0(VALU_DEP_1)
	v_cmpx_gt_u64_e64 s[12:13], v[90:91]
	s_cbranch_execz .LBB0_23
; %bb.1:
	s_clause 0x1
	s_load_b128 s[4:7], s[0:1], 0x18
	s_load_b64 s[12:13], s[0:1], 0x0
	v_mul_lo_u16 v1, 0x78, v2
	s_delay_alu instid0(VALU_DEP_1) | instskip(NEXT) | instid1(VALU_DEP_1)
	v_sub_nc_u16 v29, v0, v1
	v_and_b32_e32 v141, 0xffff, v29
	s_delay_alu instid0(VALU_DEP_1)
	v_or_b32_e32 v139, 0x180, v141
	s_wait_kmcnt 0x0
	s_load_b128 s[8:11], s[4:5], 0x0
	s_wait_kmcnt 0x0
	v_mad_co_u64_u32 v[0:1], null, s10, v90, 0
	v_mad_co_u64_u32 v[3:4], null, s8, v141, 0
	;; [unrolled: 1-line block ×3, first 2 shown]
	s_mul_u64 s[2:3], s[8:9], 0xc0
	s_mul_u64 s[4:5], s[8:9], 0xc00
	s_delay_alu instid0(VALU_DEP_3) | instskip(SKIP_2) | instid1(VALU_DEP_2)
	v_mad_co_u64_u32 v[13:14], null, s11, v90, v[1:2]
	s_lshl_b64 s[16:17], s[2:3], 3
	s_load_b64 s[10:11], s[0:1], 0x38
	v_mad_co_u64_u32 v[14:15], null, s9, v141, v[4:5]
	s_delay_alu instid0(VALU_DEP_1) | instskip(SKIP_3) | instid1(VALU_DEP_4)
	v_mov_b32_e32 v4, v14
	v_or_b32_e32 v140, 0x300, v141
	v_or_b32_e32 v142, 0x480, v141
	;; [unrolled: 1-line block ×3, first 2 shown]
	v_lshlrev_b64_e32 v[3:4], 3, v[3:4]
	s_delay_alu instid0(VALU_DEP_4) | instskip(NEXT) | instid1(VALU_DEP_4)
	v_mad_co_u64_u32 v[7:8], null, s8, v140, 0
	v_mad_co_u64_u32 v[9:10], null, s8, v142, 0
	s_delay_alu instid0(VALU_DEP_4) | instskip(NEXT) | instid1(VALU_DEP_3)
	v_mad_co_u64_u32 v[11:12], null, s8, v143, 0
	v_mad_co_u64_u32 v[15:16], null, s9, v139, v[6:7]
	s_delay_alu instid0(VALU_DEP_3) | instskip(SKIP_1) | instid1(VALU_DEP_4)
	v_mad_co_u64_u32 v[16:17], null, s9, v140, v[8:9]
	v_mov_b32_e32 v1, v13
	v_mad_co_u64_u32 v[17:18], null, s9, v142, v[10:11]
	v_mad_co_u64_u32 v[18:19], null, s9, v143, v[12:13]
	v_dual_mov_b32 v6, v15 :: v_dual_lshlrev_b32 v23, 3, v141
	v_mov_b32_e32 v8, v16
	v_lshlrev_b64_e32 v[0:1], 3, v[0:1]
	s_clause 0x3
	global_load_b64 v[99:100], v23, s[12:13]
	global_load_b64 v[97:98], v23, s[12:13] offset:1536
	global_load_b64 v[95:96], v23, s[12:13] offset:3072
	;; [unrolled: 1-line block ×3, first 2 shown]
	v_mov_b32_e32 v10, v17
	v_mov_b32_e32 v12, v18
	v_lshlrev_b64_e32 v[7:8], 3, v[7:8]
	v_add_co_u32 v17, vcc_lo, s14, v0
	v_add_co_ci_u32_e32 v18, vcc_lo, s15, v1, vcc_lo
	s_delay_alu instid0(VALU_DEP_4) | instskip(NEXT) | instid1(VALU_DEP_3)
	v_lshlrev_b64_e32 v[0:1], 3, v[11:12]
	v_add_co_u32 v3, vcc_lo, v17, v3
	s_wait_alu 0xfffd
	s_delay_alu instid0(VALU_DEP_3)
	v_add_co_ci_u32_e32 v4, vcc_lo, v18, v4, vcc_lo
	v_add_co_u32 v7, vcc_lo, v17, v7
	s_wait_alu 0xfffd
	v_add_co_ci_u32_e32 v8, vcc_lo, v18, v8, vcc_lo
	v_lshlrev_b64_e32 v[5:6], 3, v[5:6]
	v_add_co_u32 v0, vcc_lo, v17, v0
	s_wait_alu 0xfffd
	v_add_co_ci_u32_e32 v1, vcc_lo, v18, v1, vcc_lo
	v_add_co_u32 v11, vcc_lo, v3, s16
	s_wait_alu 0xfffd
	v_add_co_ci_u32_e32 v12, vcc_lo, s17, v4, vcc_lo
	;; [unrolled: 3-line block ×3, first 2 shown]
	s_clause 0x4
	global_load_b64 v[7:8], v[7:8], off
	global_load_b64 v[13:14], v[0:1], off
	;; [unrolled: 1-line block ×5, first 2 shown]
	global_load_b64 v[93:94], v23, s[12:13] offset:12288
	v_add_co_u32 v0, vcc_lo, v11, s4
	s_wait_alu 0xfffd
	v_add_co_ci_u32_e32 v1, vcc_lo, s5, v12, vcc_lo
	v_lshlrev_b64_e32 v[9:10], 3, v[9:10]
	s_delay_alu instid0(VALU_DEP_3) | instskip(SKIP_1) | instid1(VALU_DEP_3)
	v_add_co_u32 v11, vcc_lo, v0, s4
	s_wait_alu 0xfffd
	v_add_co_ci_u32_e32 v12, vcc_lo, s5, v1, vcc_lo
	v_and_b32_e32 v2, 1, v2
	s_delay_alu instid0(VALU_DEP_4)
	v_add_co_u32 v9, vcc_lo, v17, v9
	s_wait_alu 0xfffd
	v_add_co_ci_u32_e32 v10, vcc_lo, v18, v10, vcc_lo
	global_load_b64 v[17:18], v[0:1], off
	global_load_b64 v[109:110], v23, s[12:13] offset:4608
	s_clause 0x1
	global_load_b64 v[19:20], v[11:12], off
	global_load_b64 v[9:10], v[9:10], off
	v_add_co_u32 v11, vcc_lo, v11, s4
	s_wait_alu 0xfffd
	v_add_co_ci_u32_e32 v12, vcc_lo, s5, v12, vcc_lo
	s_clause 0x1
	global_load_b64 v[107:108], v23, s[12:13] offset:7680
	global_load_b64 v[105:106], v23, s[12:13] offset:9216
	v_add_co_u32 v0, vcc_lo, v11, s4
	s_wait_alu 0xfffd
	v_add_co_ci_u32_e32 v1, vcc_lo, s5, v12, vcc_lo
	global_load_b64 v[11:12], v[11:12], off
	s_clause 0x1
	global_load_b64 v[101:102], v23, s[12:13] offset:10752
	global_load_b64 v[103:104], v23, s[12:13] offset:13824
	global_load_b64 v[21:22], v[0:1], off
	s_load_b128 s[4:7], s[6:7], 0x0
	v_add_co_u32 v88, s2, s12, v23
	s_delay_alu instid0(VALU_DEP_1)
	v_add_co_ci_u32_e64 v89, null, s13, 0, s2
	s_wait_loadcnt 0xc
	v_dual_mul_f32 v24, v3, v100 :: v_dual_mul_f32 v27, v16, v98
	s_wait_loadcnt 0xb
	v_mul_f32_e32 v31, v5, v96
	v_cmp_eq_u32_e32 vcc_lo, 1, v2
	s_wait_loadcnt 0xa
	v_mul_f32_e32 v25, v14, v94
	v_mul_f32_e32 v28, v15, v98
	;; [unrolled: 1-line block ×3, first 2 shown]
	v_fmac_f32_e32 v27, v15, v97
	s_wait_alu 0xfffd
	v_cndmask_b32_e64 v146, 0, 0x780, vcc_lo
	v_fmac_f32_e32 v25, v13, v93
	v_cmp_gt_u16_e32 vcc_lo, 0x48, v29
	s_delay_alu instid0(VALU_DEP_3) | instskip(SKIP_2) | instid1(VALU_DEP_3)
	v_or_b32_e32 v2, v146, v141
	v_lshl_add_u32 v144, v146, 3, v23
	v_dual_mul_f32 v23, v8, v92 :: v_dual_mul_f32 v30, v13, v94
	v_dual_mul_f32 v2, v4, v100 :: v_dual_lshlrev_b32 v145, 3, v2
	s_delay_alu instid0(VALU_DEP_2) | instskip(NEXT) | instid1(VALU_DEP_2)
	v_fmac_f32_e32 v23, v7, v91
	v_fmac_f32_e32 v2, v3, v99
	v_fma_f32 v3, v4, v99, -v24
	v_mul_f32_e32 v4, v6, v96
	v_fma_f32 v24, v8, v91, -v26
	s_wait_loadcnt 0x0
	v_mul_f32_e32 v13, v22, v104
	v_fma_f32 v28, v16, v97, -v28
	ds_store_b64 v145, v[2:3]
	v_fmac_f32_e32 v4, v5, v95
	v_fma_f32 v5, v6, v95, -v31
	v_dual_mul_f32 v6, v18, v110 :: v_dual_mul_f32 v15, v21, v104
	v_mul_f32_e32 v3, v17, v110
	v_fma_f32 v26, v14, v93, -v30
	ds_store_2addr_stride64_b64 v144, v[27:28], v[4:5] offset0:3 offset1:6
	v_mul_f32_e32 v4, v10, v106
	v_dual_mul_f32 v2, v20, v108 :: v_dual_fmac_f32 v13, v21, v103
	v_dual_mul_f32 v5, v19, v108 :: v_dual_mul_f32 v14, v9, v106
	v_fmac_f32_e32 v6, v17, v109
	s_delay_alu instid0(VALU_DEP_4)
	v_dual_fmac_f32 v4, v9, v105 :: v_dual_mul_f32 v9, v11, v102
	v_mul_f32_e32 v8, v12, v102
	v_fma_f32 v7, v18, v109, -v3
	v_fmac_f32_e32 v2, v19, v107
	v_fma_f32 v3, v20, v107, -v5
	v_fma_f32 v5, v10, v105, -v14
	v_fmac_f32_e32 v8, v11, v101
	v_fma_f32 v9, v12, v101, -v9
	v_fma_f32 v14, v22, v103, -v15
	ds_store_2addr_stride64_b64 v144, v[6:7], v[23:24] offset0:9 offset1:12
	ds_store_2addr_stride64_b64 v144, v[2:3], v[4:5] offset0:15 offset1:18
	;; [unrolled: 1-line block ×3, first 2 shown]
	ds_store_b64 v144, v[13:14] offset:13824
	s_and_saveexec_b32 s3, vcc_lo
	s_cbranch_execz .LBB0_3
; %bb.2:
	v_mad_co_u64_u32 v[0:1], null, 0xffffcdc0, s8, v[0:1]
	s_mul_i32 s2, s9, 0xffffcdc0
	s_clause 0x3
	global_load_b64 v[2:3], v[88:89], off offset:960
	global_load_b64 v[4:5], v[88:89], off offset:2496
	;; [unrolled: 1-line block ×4, first 2 shown]
	s_wait_alu 0xfffe
	s_sub_co_i32 s2, s2, s8
	global_load_b64 v[12:13], v[88:89], off offset:7104
	s_wait_alu 0xfffe
	v_add_nc_u32_e32 v1, s2, v1
	v_add_co_u32 v10, s2, v0, s16
	s_wait_alu 0xf1ff
	s_delay_alu instid0(VALU_DEP_2) | instskip(NEXT) | instid1(VALU_DEP_2)
	v_add_co_ci_u32_e64 v11, s2, s17, v1, s2
	v_add_co_u32 v14, s2, v10, s16
	global_load_b64 v[0:1], v[0:1], off
	s_wait_alu 0xf1ff
	v_add_co_ci_u32_e64 v15, s2, s17, v11, s2
	v_add_co_u32 v16, s2, v14, s16
	global_load_b64 v[10:11], v[10:11], off
	s_wait_alu 0xf1ff
	;; [unrolled: 4-line block ×5, first 2 shown]
	v_add_co_ci_u32_e64 v23, s2, s17, v21, s2
	v_add_co_u32 v24, s2, v22, s16
	v_add_nc_u32_e32 v42, 0x1c0, v144
	s_wait_alu 0xf1ff
	s_delay_alu instid0(VALU_DEP_3)
	v_add_co_ci_u32_e64 v25, s2, s17, v23, s2
	s_clause 0x1
	global_load_b64 v[26:27], v[88:89], off offset:8640
	global_load_b64 v[28:29], v[88:89], off offset:10176
	global_load_b64 v[20:21], v[20:21], off
	global_load_b64 v[22:23], v[22:23], off
	;; [unrolled: 1-line block ×3, first 2 shown]
	v_add_co_u32 v24, s2, v24, s16
	s_wait_alu 0xf1ff
	v_add_co_ci_u32_e64 v25, s2, s17, v25, s2
	global_load_b64 v[32:33], v[88:89], off offset:11712
	v_add_co_u32 v34, s2, v24, s16
	s_wait_alu 0xf1ff
	v_add_co_ci_u32_e64 v35, s2, s17, v25, s2
	global_load_b64 v[24:25], v[24:25], off
	s_clause 0x1
	global_load_b64 v[36:37], v[88:89], off offset:13248
	global_load_b64 v[38:39], v[88:89], off offset:14784
	global_load_b64 v[34:35], v[34:35], off
	s_wait_loadcnt 0xe
	v_mul_f32_e32 v41, v0, v3
	s_wait_loadcnt 0xd
	v_dual_mul_f32 v40, v1, v3 :: v_dual_mul_f32 v3, v11, v5
	s_delay_alu instid0(VALU_DEP_1) | instskip(NEXT) | instid1(VALU_DEP_3)
	v_dual_mul_f32 v5, v10, v5 :: v_dual_fmac_f32 v40, v0, v2
	v_fma_f32 v41, v1, v2, -v41
	s_wait_loadcnt 0xc
	s_delay_alu instid0(VALU_DEP_3) | instskip(NEXT) | instid1(VALU_DEP_3)
	v_dual_mul_f32 v0, v15, v7 :: v_dual_fmac_f32 v3, v10, v4
	v_fma_f32 v4, v11, v4, -v5
	v_mul_f32_e32 v1, v14, v7
	s_wait_loadcnt 0xb
	s_delay_alu instid0(VALU_DEP_3) | instskip(SKIP_3) | instid1(VALU_DEP_3)
	v_dual_fmac_f32 v0, v14, v6 :: v_dual_mul_f32 v5, v17, v9
	v_mul_f32_e32 v2, v16, v9
	s_wait_loadcnt 0xa
	v_mul_f32_e32 v7, v19, v13
	v_dual_mul_f32 v10, v18, v13 :: v_dual_fmac_f32 v5, v16, v8
	s_wait_loadcnt 0x7
	v_mul_f32_e32 v9, v21, v27
	s_wait_loadcnt 0x6
	v_mul_f32_e32 v11, v23, v29
	;; [unrolled: 2-line block ×4, first 2 shown]
	v_fma_f32 v1, v15, v6, -v1
	v_fma_f32 v6, v17, v8, -v2
	v_dual_mul_f32 v2, v20, v27 :: v_dual_fmac_f32 v7, v18, v12
	s_wait_loadcnt 0x0
	v_mul_f32_e32 v18, v34, v39
	v_fma_f32 v8, v19, v12, -v10
	v_dual_mul_f32 v12, v22, v29 :: v_dual_fmac_f32 v9, v20, v26
	v_fma_f32 v10, v21, v26, -v2
	v_mul_f32_e32 v2, v30, v33
	v_mul_f32_e32 v15, v25, v37
	;; [unrolled: 1-line block ×3, first 2 shown]
	v_fmac_f32_e32 v11, v22, v28
	v_fma_f32 v12, v23, v28, -v12
	v_fmac_f32_e32 v13, v30, v32
	v_fma_f32 v14, v31, v32, -v2
	;; [unrolled: 2-line block ×4, first 2 shown]
	ds_store_2addr_stride64_b64 v42, v[40:41], v[3:4] offset0:1 offset1:4
	ds_store_2addr_stride64_b64 v42, v[0:1], v[5:6] offset0:7 offset1:10
	;; [unrolled: 1-line block ×5, first 2 shown]
.LBB0_3:
	s_wait_alu 0xfffe
	s_or_b32 exec_lo, exec_lo, s3
	global_wb scope:SCOPE_SE
	s_wait_dscnt 0x0
	s_wait_kmcnt 0x0
	s_barrier_signal -1
	s_barrier_wait -1
	global_inv scope:SCOPE_SE
	ds_load_2addr_stride64_b64 v[32:35], v144 offset0:3 offset1:6
	ds_load_2addr_stride64_b64 v[24:27], v144 offset0:9 offset1:12
	;; [unrolled: 1-line block ×4, first 2 shown]
	ds_load_b64 v[36:37], v145
	ds_load_b64 v[38:39], v144 offset:13824
                                        ; implicit-def: $vgpr10
                                        ; implicit-def: $vgpr12
                                        ; implicit-def: $vgpr4
                                        ; implicit-def: $vgpr18
                                        ; implicit-def: $vgpr2
	s_and_saveexec_b32 s2, vcc_lo
	s_cbranch_execz .LBB0_5
; %bb.4:
	v_add_nc_u32_e32 v4, 0x1c0, v144
	ds_load_2addr_stride64_b64 v[0:3], v4 offset0:1 offset1:4
	ds_load_2addr_stride64_b64 v[16:19], v4 offset0:7 offset1:10
	;; [unrolled: 1-line block ×5, first 2 shown]
.LBB0_5:
	s_wait_alu 0xfffe
	s_or_b32 exec_lo, exec_lo, s2
	s_wait_dscnt 0x3
	v_dual_add_f32 v40, v26, v30 :: v_dual_sub_f32 v43, v27, v31
	s_wait_dscnt 0x1
	v_dual_add_f32 v41, v36, v34 :: v_dual_sub_f32 v42, v35, v23
	s_load_b64 s[2:3], s[0:1], 0x8
	s_delay_alu instid0(VALU_DEP_2) | instskip(SKIP_1) | instid1(VALU_DEP_3)
	v_fma_f32 v51, -0.5, v40, v36
	v_add_co_u32 v64, s0, 0x78, v141
	v_add_f32_e32 v41, v41, v26
	global_wb scope:SCOPE_SE
	s_wait_dscnt 0x0
	v_fmamk_f32 v52, v42, 0x3f737871, v51
	v_dual_fmac_f32 v51, 0xbf737871, v42 :: v_dual_add_f32 v46, v27, v31
	v_sub_f32_e32 v44, v22, v30
	s_delay_alu instid0(VALU_DEP_3) | instskip(NEXT) | instid1(VALU_DEP_3)
	v_dual_add_f32 v41, v41, v30 :: v_dual_fmac_f32 v52, 0x3f167918, v43
	v_fmac_f32_e32 v51, 0xbf167918, v43
	v_add_f32_e32 v45, v34, v22
	v_fma_f32 v59, -0.5, v46, v37
	v_mul_u32_u24_e32 v148, 10, v64
	s_wait_kmcnt 0x0
	s_barrier_signal -1
	s_barrier_wait -1
	v_fma_f32 v36, -0.5, v45, v36
	v_sub_f32_e32 v40, v34, v26
	global_inv scope:SCOPE_SE
	v_add_f32_e32 v45, v37, v35
	v_dual_fmamk_f32 v53, v43, 0xbf737871, v36 :: v_dual_add_f32 v40, v40, v44
	s_wait_alu 0xf1ff
	v_add_co_ci_u32_e64 v44, null, 0, 0, s0
	v_add_f32_e32 v50, v41, v22
	v_sub_f32_e32 v41, v26, v34
	v_fmac_f32_e32 v51, 0x3e9e377a, v40
	v_fmac_f32_e32 v52, 0x3e9e377a, v40
	v_sub_f32_e32 v44, v30, v22
	v_fmac_f32_e32 v36, 0x3f737871, v43
	v_dual_add_f32 v43, v45, v27 :: v_dual_sub_f32 v22, v34, v22
	v_fmac_f32_e32 v53, 0x3f167918, v42
	s_delay_alu instid0(VALU_DEP_4) | instskip(NEXT) | instid1(VALU_DEP_4)
	v_dual_add_f32 v41, v41, v44 :: v_dual_add_f32 v40, v35, v23
	v_fmac_f32_e32 v36, 0xbf167918, v42
	s_delay_alu instid0(VALU_DEP_4) | instskip(NEXT) | instid1(VALU_DEP_3)
	v_dual_add_f32 v34, v43, v31 :: v_dual_fmamk_f32 v55, v22, 0xbf737871, v59
	v_dual_fmac_f32 v53, 0x3e9e377a, v41 :: v_dual_sub_f32 v26, v26, v30
	v_sub_f32_e32 v30, v35, v27
	v_sub_f32_e32 v27, v27, v35
	v_dual_sub_f32 v42, v23, v31 :: v_dual_fmac_f32 v37, -0.5, v40
	s_delay_alu instid0(VALU_DEP_4) | instskip(SKIP_2) | instid1(VALU_DEP_4)
	v_fmac_f32_e32 v55, 0xbf167918, v26
	v_fmac_f32_e32 v36, 0x3e9e377a, v41
	v_dual_add_f32 v34, v34, v23 :: v_dual_fmac_f32 v59, 0x3f737871, v22
	v_dual_add_f32 v30, v30, v42 :: v_dual_sub_f32 v23, v31, v23
	v_add_f32_e32 v31, v32, v24
	v_fmamk_f32 v57, v26, 0x3f737871, v37
	s_delay_alu instid0(VALU_DEP_4) | instskip(SKIP_1) | instid1(VALU_DEP_4)
	v_fmac_f32_e32 v59, 0x3f167918, v26
	v_dual_fmac_f32 v37, 0xbf737871, v26 :: v_dual_sub_f32 v40, v28, v24
	v_dual_add_f32 v26, v31, v28 :: v_dual_fmac_f32 v55, 0x3e9e377a, v30
	s_delay_alu instid0(VALU_DEP_4) | instskip(NEXT) | instid1(VALU_DEP_3)
	v_fmac_f32_e32 v57, 0xbf167918, v22
	v_fmac_f32_e32 v37, 0x3f167918, v22
	v_sub_f32_e32 v35, v38, v20
	s_delay_alu instid0(VALU_DEP_4) | instskip(SKIP_3) | instid1(VALU_DEP_4)
	v_dual_fmac_f32 v59, 0x3e9e377a, v30 :: v_dual_add_f32 v22, v26, v20
	v_add_f32_e32 v23, v27, v23
	v_dual_sub_f32 v30, v25, v39 :: v_dual_add_f32 v27, v28, v20
	v_sub_f32_e32 v42, v20, v38
	v_add_f32_e32 v22, v22, v38
	v_sub_f32_e32 v20, v28, v20
	s_delay_alu instid0(VALU_DEP_4) | instskip(NEXT) | instid1(VALU_DEP_1)
	v_fma_f32 v26, -0.5, v27, v32
	v_fmamk_f32 v31, v30, 0x3f737871, v26
	v_fmac_f32_e32 v26, 0xbf737871, v30
	v_add_f32_e32 v27, v24, v38
	s_delay_alu instid0(VALU_DEP_1) | instskip(SKIP_3) | instid1(VALU_DEP_3)
	v_fma_f32 v27, -0.5, v27, v32
	v_dual_sub_f32 v32, v24, v28 :: v_dual_fmac_f32 v57, 0x3e9e377a, v23
	v_sub_f32_e32 v24, v24, v38
	v_sub_f32_e32 v38, v39, v21
	v_add_f32_e32 v32, v32, v35
	v_fmac_f32_e32 v37, 0x3e9e377a, v23
	v_sub_f32_e32 v23, v29, v21
	s_delay_alu instid0(VALU_DEP_1) | instskip(SKIP_3) | instid1(VALU_DEP_4)
	v_fmamk_f32 v41, v23, 0xbf737871, v27
	v_fmac_f32_e32 v27, 0x3f737871, v23
	v_fmac_f32_e32 v31, 0x3f167918, v23
	;; [unrolled: 1-line block ×4, first 2 shown]
	s_delay_alu instid0(VALU_DEP_4) | instskip(NEXT) | instid1(VALU_DEP_4)
	v_dual_fmac_f32 v27, 0xbf167918, v30 :: v_dual_add_f32 v30, v25, v39
	v_fmac_f32_e32 v31, 0x3e9e377a, v32
	s_delay_alu instid0(VALU_DEP_4) | instskip(SKIP_1) | instid1(VALU_DEP_4)
	v_fmac_f32_e32 v26, 0x3e9e377a, v32
	v_add_f32_e32 v32, v33, v25
	v_fma_f32 v28, -0.5, v30, v33
	v_add_f32_e32 v23, v29, v21
	s_delay_alu instid0(VALU_DEP_3) | instskip(NEXT) | instid1(VALU_DEP_2)
	v_add_f32_e32 v30, v32, v29
	v_fma_f32 v23, -0.5, v23, v33
	v_sub_f32_e32 v33, v25, v29
	v_sub_f32_e32 v25, v29, v25
	s_delay_alu instid0(VALU_DEP_3) | instskip(SKIP_2) | instid1(VALU_DEP_3)
	v_dual_sub_f32 v29, v21, v39 :: v_dual_fmamk_f32 v32, v24, 0xbf737871, v23
	v_add_f32_e32 v35, v40, v42
	v_fmac_f32_e32 v23, 0x3f737871, v24
	v_dual_add_f32 v25, v25, v29 :: v_dual_add_f32 v40, v50, v22
	s_delay_alu instid0(VALU_DEP_4) | instskip(NEXT) | instid1(VALU_DEP_4)
	v_fmac_f32_e32 v32, 0xbf167918, v20
	v_fmac_f32_e32 v41, 0x3e9e377a, v35
	;; [unrolled: 1-line block ×3, first 2 shown]
	v_fmamk_f32 v35, v20, 0x3f737871, v28
	v_fmac_f32_e32 v28, 0xbf737871, v20
	v_sub_f32_e32 v50, v50, v22
	v_dual_add_f32 v29, v33, v38 :: v_dual_add_f32 v22, v16, v0
	s_delay_alu instid0(VALU_DEP_4) | instskip(NEXT) | instid1(VALU_DEP_4)
	v_fmac_f32_e32 v35, 0xbf167918, v24
	v_fmac_f32_e32 v28, 0x3f167918, v24
	s_delay_alu instid0(VALU_DEP_3) | instskip(NEXT) | instid1(VALU_DEP_3)
	v_fmac_f32_e32 v32, 0x3e9e377a, v29
	v_fmac_f32_e32 v35, 0x3e9e377a, v25
	s_delay_alu instid0(VALU_DEP_1) | instskip(NEXT) | instid1(VALU_DEP_4)
	v_mul_f32_e32 v24, 0x3f737871, v35
	v_fmac_f32_e32 v28, 0x3e9e377a, v25
	v_dual_add_f32 v21, v30, v21 :: v_dual_mul_f32 v30, 0xbf167918, v31
	s_delay_alu instid0(VALU_DEP_3) | instskip(NEXT) | instid1(VALU_DEP_2)
	v_dual_fmac_f32 v24, 0x3e9e377a, v41 :: v_dual_mul_f32 v25, 0x3e9e377a, v27
	v_fmac_f32_e32 v30, 0x3f4f1bbd, v32
	s_delay_alu instid0(VALU_DEP_2) | instskip(NEXT) | instid1(VALU_DEP_3)
	v_sub_f32_e32 v54, v53, v24
	v_fma_f32 v25, 0x3f737871, v28, -v25
	v_fmac_f32_e32 v23, 0x3f167918, v20
	v_mul_f32_e32 v20, 0x3f4f1bbd, v31
	v_mul_f32_e32 v31, 0xbf737871, v41
	;; [unrolled: 1-line block ×3, first 2 shown]
	v_sub_f32_e32 v56, v36, v25
	v_fmac_f32_e32 v23, 0x3e9e377a, v29
	v_fmac_f32_e32 v20, 0x3f167918, v32
	v_mul_f32_e32 v29, 0x3f4f1bbd, v26
	v_add_f32_e32 v21, v21, v39
	v_fmac_f32_e32 v31, 0x3e9e377a, v35
	v_fma_f32 v27, 0xbf737871, v27, -v28
	v_add_f32_e32 v42, v52, v20
	v_sub_f32_e32 v52, v52, v20
	v_add_f32_e32 v20, v12, v8
	v_fma_f32 v29, 0x3f167918, v23, -v29
	v_dual_mul_f32 v23, 0x3f4f1bbd, v23 :: v_dual_add_f32 v44, v53, v24
	v_dual_add_f32 v46, v36, v25 :: v_dual_add_f32 v43, v55, v30
	s_delay_alu instid0(VALU_DEP_3)
	v_dual_add_f32 v48, v51, v29 :: v_dual_add_f32 v47, v37, v27
	v_sub_f32_e32 v28, v4, v12
	v_sub_f32_e32 v58, v51, v29
	v_fma_f32 v23, 0xbf167918, v26, -v23
	v_fma_f32 v25, -0.5, v20, v0
	v_sub_f32_e32 v24, v17, v5
	v_add_f32_e32 v41, v34, v21
	v_dual_add_f32 v45, v57, v31 :: v_dual_sub_f32 v26, v16, v8
	v_sub_f32_e32 v51, v34, v21
	v_dual_add_f32 v21, v8, v22 :: v_dual_sub_f32 v22, v9, v13
	v_add_f32_e32 v29, v4, v16
	v_dual_sub_f32 v53, v55, v30 :: v_dual_fmamk_f32 v20, v24, 0x3f737871, v25
	v_dual_add_f32 v49, v59, v23 :: v_dual_add_f32 v26, v28, v26
	s_delay_alu instid0(VALU_DEP_3) | instskip(SKIP_1) | instid1(VALU_DEP_4)
	v_fmac_f32_e32 v0, -0.5, v29
	v_sub_f32_e32 v28, v12, v4
	v_dual_fmac_f32 v20, 0x3f167918, v22 :: v_dual_sub_f32 v55, v57, v31
	v_sub_f32_e32 v57, v37, v27
	v_sub_f32_e32 v27, v8, v16
	v_add_f32_e32 v29, v17, v1
	v_sub_f32_e32 v59, v59, v23
	v_dual_fmamk_f32 v23, v22, 0xbf737871, v0 :: v_dual_sub_f32 v16, v16, v4
	v_add_f32_e32 v30, v13, v9
	v_dual_fmac_f32 v0, 0x3f737871, v22 :: v_dual_add_f32 v21, v12, v21
	s_delay_alu instid0(VALU_DEP_3) | instskip(SKIP_1) | instid1(VALU_DEP_4)
	v_fmac_f32_e32 v23, 0x3f167918, v24
	v_fmac_f32_e32 v20, 0x3e9e377a, v26
	v_fma_f32 v60, -0.5, v30, v1
	v_fmac_f32_e32 v25, 0xbf737871, v24
	v_fmac_f32_e32 v0, 0xbf167918, v24
	v_dual_add_f32 v24, v5, v17 :: v_dual_add_f32 v27, v28, v27
	s_delay_alu instid0(VALU_DEP_3) | instskip(SKIP_1) | instid1(VALU_DEP_3)
	v_dual_sub_f32 v28, v5, v13 :: v_dual_fmac_f32 v25, 0xbf167918, v22
	v_sub_f32_e32 v12, v8, v12
	v_fmac_f32_e32 v0, 0x3e9e377a, v27
	v_add_f32_e32 v22, v9, v29
	v_add_f32_e32 v21, v4, v21
	v_fmac_f32_e32 v25, 0x3e9e377a, v26
	v_fmamk_f32 v4, v16, 0xbf737871, v60
	v_sub_f32_e32 v26, v17, v9
	v_dual_add_f32 v22, v13, v22 :: v_dual_fmac_f32 v1, -0.5, v24
	v_fmac_f32_e32 v23, 0x3e9e377a, v27
	s_delay_alu instid0(VALU_DEP_4) | instskip(NEXT) | instid1(VALU_DEP_3)
	v_dual_fmac_f32 v4, 0xbf167918, v12 :: v_dual_sub_f32 v9, v9, v17
	v_add_f32_e32 v8, v5, v22
	v_add_f32_e32 v22, v28, v26
	v_dual_fmac_f32 v60, 0x3f737871, v16 :: v_dual_fmamk_f32 v27, v12, 0x3f737871, v1
	v_sub_f32_e32 v5, v13, v5
	v_add_f32_e32 v13, v10, v14
	s_delay_alu instid0(VALU_DEP_4) | instskip(NEXT) | instid1(VALU_DEP_4)
	v_fmac_f32_e32 v4, 0x3e9e377a, v22
	v_fmac_f32_e32 v60, 0x3f167918, v12
	v_dual_fmac_f32 v27, 0xbf167918, v16 :: v_dual_sub_f32 v24, v18, v10
	v_add_f32_e32 v5, v5, v9
	v_fma_f32 v13, -0.5, v13, v2
	s_delay_alu instid0(VALU_DEP_4)
	v_dual_fmac_f32 v60, 0x3e9e377a, v22 :: v_dual_sub_f32 v17, v19, v7
	v_sub_f32_e32 v26, v6, v14
	v_add_f32_e32 v9, v18, v2
	v_dual_fmac_f32 v27, 0x3e9e377a, v5 :: v_dual_add_f32 v28, v6, v18
	v_fmac_f32_e32 v1, 0xbf737871, v12
	v_fmamk_f32 v12, v17, 0x3f737871, v13
	s_delay_alu instid0(VALU_DEP_4) | instskip(NEXT) | instid1(VALU_DEP_4)
	v_dual_sub_f32 v22, v11, v15 :: v_dual_add_f32 v9, v10, v9
	v_fmac_f32_e32 v2, -0.5, v28
	s_delay_alu instid0(VALU_DEP_4) | instskip(SKIP_1) | instid1(VALU_DEP_4)
	v_fmac_f32_e32 v1, 0x3f167918, v16
	v_add_f32_e32 v16, v26, v24
	v_dual_fmac_f32 v12, 0x3f167918, v22 :: v_dual_add_f32 v9, v14, v9
	v_dual_fmac_f32 v13, 0xbf737871, v17 :: v_dual_sub_f32 v24, v10, v18
	s_delay_alu instid0(VALU_DEP_4) | instskip(NEXT) | instid1(VALU_DEP_3)
	v_dual_sub_f32 v26, v14, v6 :: v_dual_fmac_f32 v1, 0x3e9e377a, v5
	v_dual_add_f32 v5, v6, v9 :: v_dual_fmac_f32 v12, 0x3e9e377a, v16
	v_fmamk_f32 v9, v22, 0xbf737871, v2
	s_delay_alu instid0(VALU_DEP_3) | instskip(SKIP_2) | instid1(VALU_DEP_4)
	v_dual_fmac_f32 v13, 0xbf167918, v22 :: v_dual_add_f32 v24, v26, v24
	v_fmac_f32_e32 v2, 0x3f737871, v22
	v_add_f32_e32 v22, v11, v15
	v_dual_add_f32 v26, v7, v19 :: v_dual_fmac_f32 v9, 0x3f167918, v17
	v_sub_f32_e32 v10, v10, v14
	s_delay_alu instid0(VALU_DEP_4) | instskip(NEXT) | instid1(VALU_DEP_4)
	v_dual_fmac_f32 v2, 0xbf167918, v17 :: v_dual_add_f32 v17, v19, v3
	v_fma_f32 v22, -0.5, v22, v3
	s_delay_alu instid0(VALU_DEP_4) | instskip(SKIP_2) | instid1(VALU_DEP_3)
	v_fmac_f32_e32 v3, -0.5, v26
	v_dual_fmac_f32 v13, 0x3e9e377a, v16 :: v_dual_sub_f32 v6, v18, v6
	v_dual_fmac_f32 v9, 0x3e9e377a, v24 :: v_dual_sub_f32 v16, v11, v19
	v_fmamk_f32 v14, v10, 0x3f737871, v3
	v_dual_sub_f32 v18, v15, v7 :: v_dual_fmac_f32 v3, 0xbf737871, v10
	v_dual_fmac_f32 v2, 0x3e9e377a, v24 :: v_dual_sub_f32 v19, v19, v11
	v_sub_f32_e32 v26, v7, v15
	s_delay_alu instid0(VALU_DEP_3) | instskip(NEXT) | instid1(VALU_DEP_4)
	v_dual_add_f32 v16, v18, v16 :: v_dual_add_f32 v11, v11, v17
	v_fmac_f32_e32 v3, 0x3f167918, v6
	s_delay_alu instid0(VALU_DEP_3) | instskip(NEXT) | instid1(VALU_DEP_3)
	v_dual_fmac_f32 v14, 0xbf167918, v6 :: v_dual_add_f32 v17, v26, v19
	v_dual_fmamk_f32 v24, v6, 0xbf737871, v22 :: v_dual_add_f32 v11, v15, v11
	v_sub_f32_e32 v34, v21, v5
	s_delay_alu instid0(VALU_DEP_3) | instskip(NEXT) | instid1(VALU_DEP_3)
	v_fmac_f32_e32 v14, 0x3e9e377a, v16
	v_dual_fmac_f32 v24, 0xbf167918, v10 :: v_dual_add_f32 v7, v7, v11
	v_mul_f32_e32 v11, 0x3f4f1bbd, v13
	s_delay_alu instid0(VALU_DEP_3) | instskip(NEXT) | instid1(VALU_DEP_3)
	v_mul_f32_e32 v15, 0x3f737871, v14
	v_dual_fmac_f32 v3, 0x3e9e377a, v16 :: v_dual_fmac_f32 v24, 0x3e9e377a, v17
	s_delay_alu instid0(VALU_DEP_4) | instskip(NEXT) | instid1(VALU_DEP_3)
	v_dual_mul_f32 v16, 0x3e9e377a, v2 :: v_dual_sub_f32 v35, v8, v7
	v_fmac_f32_e32 v15, 0x3e9e377a, v9
	s_delay_alu instid0(VALU_DEP_1) | instskip(NEXT) | instid1(VALU_DEP_1)
	v_dual_mul_f32 v9, 0xbf737871, v9 :: v_dual_add_f32 v28, v23, v15
	v_fmac_f32_e32 v9, 0x3e9e377a, v14
	s_delay_alu instid0(VALU_DEP_1) | instskip(NEXT) | instid1(VALU_DEP_1)
	v_dual_fmac_f32 v22, 0x3f737871, v6 :: v_dual_add_f32 v29, v27, v9
	v_fmac_f32_e32 v22, 0x3f167918, v10
	v_fma_f32 v10, 0x3f737871, v3, -v16
	v_dual_mul_f32 v16, 0x3e9e377a, v3 :: v_dual_sub_f32 v39, v27, v9
	s_delay_alu instid0(VALU_DEP_2) | instskip(NEXT) | instid1(VALU_DEP_2)
	v_dual_mul_f32 v3, 0xbf167918, v12 :: v_dual_add_f32 v30, v0, v10
	v_fma_f32 v2, 0xbf737871, v2, -v16
	v_mul_f32_e32 v6, 0x3f167918, v24
	s_delay_alu instid0(VALU_DEP_2) | instskip(NEXT) | instid1(VALU_DEP_2)
	v_dual_sub_f32 v38, v23, v15 :: v_dual_add_f32 v31, v1, v2
	v_fmac_f32_e32 v6, 0x3f4f1bbd, v12
	v_dual_fmac_f32 v3, 0x3f4f1bbd, v24 :: v_dual_sub_f32 v24, v0, v10
	s_delay_alu instid0(VALU_DEP_2) | instskip(NEXT) | instid1(VALU_DEP_2)
	v_sub_f32_e32 v36, v20, v6
	v_dual_fmac_f32 v22, 0x3e9e377a, v17 :: v_dual_sub_f32 v37, v4, v3
	s_delay_alu instid0(VALU_DEP_1) | instskip(NEXT) | instid1(VALU_DEP_1)
	v_fma_f32 v11, 0x3f167918, v22, -v11
	v_dual_mul_f32 v17, 0x3f4f1bbd, v22 :: v_dual_add_f32 v32, v25, v11
	s_delay_alu instid0(VALU_DEP_1) | instskip(SKIP_3) | instid1(VALU_DEP_3)
	v_fma_f32 v12, 0xbf167918, v13, -v17
	v_mul_lo_u16 v13, v141, 10
	v_sub_f32_e32 v26, v25, v11
	v_sub_f32_e32 v25, v1, v2
	v_dual_sub_f32 v27, v60, v12 :: v_dual_and_b32 v0, 0xffff, v13
	v_add_f32_e32 v33, v60, v12
	s_delay_alu instid0(VALU_DEP_2)
	v_add_lshl_u32 v147, v146, v0, 3
	ds_store_b128 v147, v[40:43]
	ds_store_b128 v147, v[44:47] offset:16
	ds_store_b128 v147, v[48:51] offset:32
	;; [unrolled: 1-line block ×4, first 2 shown]
	s_and_saveexec_b32 s0, vcc_lo
	s_cbranch_execz .LBB0_7
; %bb.6:
	v_dual_add_f32 v3, v4, v3 :: v_dual_add_f32 v0, v5, v21
	v_dual_add_f32 v1, v7, v8 :: v_dual_add_f32 v2, v20, v6
	v_add_lshl_u32 v4, v146, v148, 3
	ds_store_b128 v4, v[0:3]
	ds_store_b128 v4, v[28:31] offset:16
	ds_store_b128 v4, v[32:35] offset:32
	;; [unrolled: 1-line block ×4, first 2 shown]
.LBB0_7:
	s_wait_alu 0xfffe
	s_or_b32 exec_lo, exec_lo, s0
	v_add_nc_u32_e32 v0, 0x300, v144
	v_add_nc_u32_e32 v1, 0xd00, v144
	v_add_nc_u32_e32 v2, 0x1700, v144
	v_add_nc_u32_e32 v3, 0x2100, v144
	v_add_nc_u32_e32 v4, 0x2b00, v144
	global_wb scope:SCOPE_SE
	s_wait_dscnt 0x0
	s_barrier_signal -1
	s_barrier_wait -1
	global_inv scope:SCOPE_SE
	ds_load_2addr_b64 v[40:43], v0 offset0:24 offset1:224
	ds_load_2addr_b64 v[56:59], v1 offset0:24 offset1:224
	;; [unrolled: 1-line block ×5, first 2 shown]
	ds_load_b64 v[60:61], v145
	ds_load_b64 v[62:63], v144 offset:13760
	v_cmp_gt_u16_e64 s0, 0x50, v141
	s_delay_alu instid0(VALU_DEP_1)
	s_and_saveexec_b32 s1, s0
	s_cbranch_execz .LBB0_9
; %bb.8:
	v_add_nc_u32_e32 v0, 0x180, v144
	ds_load_2addr_stride64_b64 v[28:31], v0 offset0:3 offset1:8
	ds_load_2addr_stride64_b64 v[32:35], v0 offset0:13 offset1:18
	;; [unrolled: 1-line block ×3, first 2 shown]
.LBB0_9:
	s_wait_alu 0xfffe
	s_or_b32 exec_lo, exec_lo, s1
	v_and_b32_e32 v0, 0xff, v141
	v_and_b32_e32 v1, 0xff, v64
	v_add_nc_u16 v4, v141, 0xf0
	s_delay_alu instid0(VALU_DEP_3) | instskip(NEXT) | instid1(VALU_DEP_1)
	v_mul_lo_u16 v0, 0xcd, v0
	v_lshrrev_b16 v66, 11, v0
	s_delay_alu instid0(VALU_DEP_4) | instskip(NEXT) | instid1(VALU_DEP_2)
	v_mul_lo_u16 v0, 0xcd, v1
	v_mul_lo_u16 v1, v66, 10
	s_delay_alu instid0(VALU_DEP_2) | instskip(NEXT) | instid1(VALU_DEP_2)
	v_lshrrev_b16 v67, 11, v0
	v_sub_nc_u16 v0, v141, v1
	s_delay_alu instid0(VALU_DEP_2) | instskip(NEXT) | instid1(VALU_DEP_2)
	v_mul_lo_u16 v1, v67, 10
	v_and_b32_e32 v68, 0xff, v0
	s_delay_alu instid0(VALU_DEP_2) | instskip(NEXT) | instid1(VALU_DEP_2)
	v_sub_nc_u16 v2, v64, v1
	v_mad_co_u64_u32 v[0:1], null, v68, 40, s[2:3]
	s_clause 0x1
	global_load_b128 v[20:23], v[0:1], off
	global_load_b128 v[16:19], v[0:1], off offset:16
	v_and_b32_e32 v3, 0xffff, v4
	v_and_b32_e32 v69, 0xff, v2
	s_delay_alu instid0(VALU_DEP_2) | instskip(NEXT) | instid1(VALU_DEP_2)
	v_mul_u32_u24_e32 v5, 0xcccd, v3
	v_mad_co_u64_u32 v[2:3], null, v69, 40, s[2:3]
	s_clause 0x1
	global_load_b64 v[115:116], v[0:1], off offset:32
	global_load_b128 v[12:15], v[2:3], off
	v_lshrrev_b32_e32 v74, 19, v5
	s_clause 0x1
	global_load_b128 v[8:11], v[2:3], off offset:16
	global_load_b64 v[113:114], v[2:3], off offset:32
	v_mul_lo_u16 v0, v74, 10
	s_delay_alu instid0(VALU_DEP_1) | instskip(NEXT) | instid1(VALU_DEP_1)
	v_sub_nc_u16 v75, v4, v0
	v_mul_lo_u16 v0, v75, 40
	v_mad_u16 v152, v74, 60, v75
	s_delay_alu instid0(VALU_DEP_2) | instskip(NEXT) | instid1(VALU_DEP_1)
	v_and_b32_e32 v0, 0xffff, v0
	v_add_co_u32 v64, s1, s2, v0
	s_wait_alu 0xf1ff
	v_add_co_ci_u32_e64 v65, null, s3, 0, s1
	s_clause 0x2
	global_load_b128 v[4:7], v[64:65], off
	global_load_b128 v[0:3], v[64:65], off offset:16
	global_load_b64 v[111:112], v[64:65], off offset:32
	v_and_b32_e32 v65, 0xffff, v67
	v_and_b32_e32 v64, 0xffff, v66
	global_wb scope:SCOPE_SE
	s_wait_loadcnt_dscnt 0x0
	s_barrier_signal -1
	s_barrier_wait -1
	global_inv scope:SCOPE_SE
	v_mul_f32_e32 v66, v59, v23
	v_mul_f32_e32 v71, v50, v19
	v_mul_u32_u24_e32 v64, 60, v64
	v_mul_f32_e32 v67, v58, v23
	v_mul_f32_e32 v70, v51, v19
	v_fma_f32 v58, v58, v22, -v66
	v_fmac_f32_e32 v71, v51, v18
	s_delay_alu instid0(VALU_DEP_4) | instskip(NEXT) | instid1(VALU_DEP_4)
	v_fmac_f32_e32 v67, v59, v22
	v_fma_f32 v50, v50, v18, -v70
	v_mul_f32_e32 v72, v47, v116
	v_mul_u32_u24_e32 v65, 60, v65
	v_dual_mul_f32 v73, v46, v116 :: v_dual_mul_f32 v76, v57, v13
	v_dual_mul_f32 v77, v56, v13 :: v_dual_mul_f32 v78, v53, v15
	s_delay_alu instid0(VALU_DEP_3) | instskip(SKIP_3) | instid1(VALU_DEP_4)
	v_add_nc_u32_e32 v65, v65, v69
	v_mul_f32_e32 v69, v54, v17
	v_dual_mul_f32 v79, v52, v15 :: v_dual_mul_f32 v80, v49, v9
	v_dual_mul_f32 v81, v48, v9 :: v_dual_mul_f32 v82, v45, v11
	v_add_lshl_u32 v149, v146, v65, 3
	v_dual_mul_f32 v65, v42, v21 :: v_dual_add_nc_u32 v64, v64, v68
	v_dual_mul_f32 v85, v62, v114 :: v_dual_mul_f32 v68, v55, v17
	v_dual_mul_f32 v83, v44, v11 :: v_dual_mul_f32 v84, v63, v114
	s_delay_alu instid0(VALU_DEP_3)
	v_add_lshl_u32 v150, v146, v64, 3
	v_mul_f32_e32 v64, v43, v21
	v_fmac_f32_e32 v65, v43, v20
	v_fma_f32 v54, v54, v16, -v68
	v_fmac_f32_e32 v69, v55, v16
	v_fma_f32 v51, v46, v115, -v72
	v_fma_f32 v64, v42, v20, -v64
	v_dual_fmac_f32 v73, v47, v115 :: v_dual_add_f32 v66, v58, v50
	v_fma_f32 v47, v56, v12, -v76
	v_fmac_f32_e32 v79, v53, v14
	v_fma_f32 v48, v48, v8, -v80
	v_fmac_f32_e32 v81, v49, v8
	v_fma_f32 v49, v44, v10, -v82
	v_dual_fmac_f32 v83, v45, v10 :: v_dual_add_f32 v76, v54, v51
	v_fma_f32 v53, v62, v113, -v84
	v_dual_mul_f32 v56, v33, v7 :: v_dual_fmac_f32 v85, v63, v113
	v_add_f32_e32 v70, v61, v67
	v_mul_f32_e32 v46, v34, v1
	v_mul_f32_e32 v44, v38, v112
	v_dual_fmac_f32 v77, v57, v12 :: v_dual_sub_f32 v68, v67, v71
	v_fma_f32 v52, v52, v14, -v78
	v_dual_mul_f32 v55, v31, v5 :: v_dual_add_f32 v72, v64, v54
	v_dual_mul_f32 v42, v30, v5 :: v_dual_mul_f32 v45, v32, v7
	v_sub_f32_e32 v78, v69, v73
	v_dual_mul_f32 v57, v35, v1 :: v_dual_sub_f32 v54, v54, v51
	v_dual_mul_f32 v59, v37, v3 :: v_dual_add_f32 v82, v40, v52
	v_dual_mul_f32 v43, v36, v3 :: v_dual_add_f32 v80, v65, v69
	v_dual_mul_f32 v62, v39, v112 :: v_dual_add_f32 v63, v60, v58
	v_sub_f32_e32 v86, v79, v83
	v_dual_add_f32 v67, v67, v71 :: v_dual_add_f32 v84, v52, v49
	v_dual_sub_f32 v58, v58, v50 :: v_dual_add_f32 v69, v69, v73
	v_dual_add_f32 v87, v41, v79 :: v_dual_add_f32 v118, v48, v53
	v_dual_add_f32 v79, v79, v83 :: v_dual_add_f32 v120, v77, v81
	v_dual_sub_f32 v119, v81, v85 :: v_dual_fmac_f32 v46, v35, v0
	v_dual_add_f32 v81, v81, v85 :: v_dual_fmac_f32 v44, v39, v111
	v_dual_sub_f32 v117, v52, v49 :: v_dual_fmac_f32 v42, v31, v4
	v_add_f32_e32 v52, v47, v48
	v_dual_sub_f32 v48, v48, v53 :: v_dual_fmac_f32 v45, v33, v6
	v_fma_f32 v32, v32, v6, -v56
	v_fma_f32 v33, v34, v0, -v57
	;; [unrolled: 1-line block ×3, first 2 shown]
	v_dual_fmac_f32 v43, v37, v2 :: v_dual_add_f32 v36, v70, v71
	v_fma_f32 v34, v38, v111, -v62
	v_dual_add_f32 v35, v63, v50 :: v_dual_fmac_f32 v64, -0.5, v76
	v_fma_f32 v59, -0.5, v66, v60
	v_dual_fmac_f32 v61, -0.5, v67 :: v_dual_add_f32 v38, v80, v73
	v_dual_add_f32 v37, v72, v51 :: v_dual_sub_f32 v70, v46, v44
	v_fmac_f32_e32 v65, -0.5, v69
	v_dual_fmac_f32 v47, -0.5, v118 :: v_dual_add_f32 v72, v46, v44
	v_fma_f32 v30, v30, v4, -v55
	v_dual_add_f32 v39, v82, v49 :: v_dual_sub_f32 v60, v45, v43
	v_fma_f32 v71, -0.5, v84, v40
	v_add_f32_e32 v40, v87, v83
	v_dual_fmac_f32 v41, -0.5, v79 :: v_dual_add_f32 v56, v120, v85
	v_dual_add_f32 v55, v52, v53 :: v_dual_add_f32 v66, v45, v43
	v_fmac_f32_e32 v77, -0.5, v81
	v_add_f32_e32 v57, v32, v31
	v_sub_f32_e32 v67, v32, v31
	v_dual_add_f32 v69, v33, v34 :: v_dual_fmamk_f32 v76, v68, 0x3f5db3d7, v59
	v_sub_f32_e32 v73, v33, v34
	v_dual_fmac_f32 v59, 0xbf5db3d7, v68 :: v_dual_add_f32 v50, v36, v38
	v_fmamk_f32 v68, v58, 0xbf5db3d7, v61
	v_dual_fmac_f32 v61, 0x3f5db3d7, v58 :: v_dual_fmamk_f32 v58, v78, 0x3f5db3d7, v64
	v_fmac_f32_e32 v64, 0xbf5db3d7, v78
	v_fmamk_f32 v78, v54, 0xbf5db3d7, v65
	v_dual_fmac_f32 v65, 0x3f5db3d7, v54 :: v_dual_sub_f32 v62, v39, v55
	v_fma_f32 v84, -0.5, v72, v42
	v_dual_add_f32 v49, v35, v37 :: v_dual_sub_f32 v52, v36, v38
	v_dual_sub_f32 v51, v35, v37 :: v_dual_fmamk_f32 v80, v117, 0xbf5db3d7, v41
	v_fmamk_f32 v79, v86, 0x3f5db3d7, v71
	v_fmamk_f32 v81, v119, 0x3f5db3d7, v47
	v_dual_fmac_f32 v47, 0xbf5db3d7, v119 :: v_dual_mul_f32 v72, 0xbf5db3d7, v58
	v_dual_fmamk_f32 v82, v48, 0xbf5db3d7, v77 :: v_dual_add_f32 v53, v39, v55
	v_fma_f32 v35, -0.5, v57, v28
	v_fma_f32 v37, -0.5, v66, v29
	;; [unrolled: 1-line block ×3, first 2 shown]
	v_dual_mul_f32 v66, 0x3f5db3d7, v78 :: v_dual_fmac_f32 v77, 0x3f5db3d7, v48
	s_delay_alu instid0(VALU_DEP_4) | instskip(SKIP_4) | instid1(VALU_DEP_4)
	v_dual_mul_f32 v69, -0.5, v64 :: v_dual_fmamk_f32 v36, v60, 0x3f5db3d7, v35
	v_dual_mul_f32 v85, -0.5, v65 :: v_dual_fmamk_f32 v120, v73, 0xbf5db3d7, v84
	v_dual_fmac_f32 v41, 0x3f5db3d7, v117 :: v_dual_add_f32 v54, v40, v56
	v_dual_sub_f32 v63, v40, v56 :: v_dual_fmamk_f32 v38, v67, 0xbf5db3d7, v37
	v_dual_mul_f32 v87, -0.5, v47 :: v_dual_fmac_f32 v72, 0.5, v78
	v_dual_fmac_f32 v37, 0x3f5db3d7, v67 :: v_dual_mul_f32 v40, 0x3f5db3d7, v120
	v_dual_fmac_f32 v84, 0x3f5db3d7, v73 :: v_dual_fmamk_f32 v119, v70, 0x3f5db3d7, v83
	s_delay_alu instid0(VALU_DEP_3)
	v_dual_fmac_f32 v83, 0xbf5db3d7, v70 :: v_dual_add_f32 v56, v68, v72
	v_fmac_f32_e32 v66, 0.5, v58
	v_dual_fmac_f32 v71, 0xbf5db3d7, v86 :: v_dual_mul_f32 v118, -0.5, v77
	v_dual_mul_f32 v86, 0x3f5db3d7, v82 :: v_dual_fmac_f32 v69, 0x3f5db3d7, v65
	v_mul_f32_e32 v117, 0xbf5db3d7, v81
	v_fmac_f32_e32 v85, 0xbf5db3d7, v64
	s_delay_alu instid0(VALU_DEP_3) | instskip(SKIP_3) | instid1(VALU_DEP_4)
	v_dual_fmac_f32 v35, 0xbf5db3d7, v60 :: v_dual_fmac_f32 v86, 0.5, v81
	v_fmac_f32_e32 v87, 0x3f5db3d7, v77
	v_fmac_f32_e32 v118, 0xbf5db3d7, v47
	v_dual_mul_f32 v39, -0.5, v83 :: v_dual_mul_f32 v48, -0.5, v84
	v_sub_f32_e32 v70, v79, v86
	v_add_f32_e32 v55, v76, v66
	v_dual_sub_f32 v64, v76, v66 :: v_dual_add_f32 v57, v59, v69
	v_fmac_f32_e32 v40, 0.5, v119
	v_dual_mul_f32 v47, 0xbf5db3d7, v119 :: v_dual_sub_f32 v60, v59, v69
	v_dual_fmac_f32 v117, 0.5, v82 :: v_dual_add_f32 v58, v61, v85
	v_dual_sub_f32 v61, v61, v85 :: v_dual_fmac_f32 v48, 0xbf5db3d7, v83
	v_dual_add_f32 v66, v79, v86 :: v_dual_sub_f32 v65, v68, v72
	v_sub_f32_e32 v72, v71, v87
	v_dual_add_f32 v68, v71, v87 :: v_dual_fmac_f32 v39, 0x3f5db3d7, v84
	ds_store_2addr_b64 v150, v[49:50], v[55:56] offset1:10
	ds_store_2addr_b64 v150, v[57:58], v[51:52] offset0:20 offset1:30
	v_sub_f32_e32 v56, v36, v40
	v_fmac_f32_e32 v47, 0.5, v120
	v_dual_add_f32 v67, v80, v117 :: v_dual_sub_f32 v58, v35, v39
	v_sub_f32_e32 v59, v37, v48
	v_add_f32_e32 v69, v41, v118
	s_delay_alu instid0(VALU_DEP_4)
	v_sub_f32_e32 v57, v38, v47
	v_sub_f32_e32 v71, v80, v117
	;; [unrolled: 1-line block ×3, first 2 shown]
	ds_store_2addr_b64 v150, v[64:65], v[60:61] offset0:40 offset1:50
	ds_store_2addr_b64 v149, v[53:54], v[66:67] offset1:10
	ds_store_2addr_b64 v149, v[68:69], v[62:63] offset0:20 offset1:30
	ds_store_2addr_b64 v149, v[70:71], v[72:73] offset0:40 offset1:50
	s_and_saveexec_b32 s1, s0
	s_cbranch_execz .LBB0_11
; %bb.10:
	v_dual_add_f32 v29, v29, v45 :: v_dual_add_f32 v28, v28, v32
	s_delay_alu instid0(VALU_DEP_1) | instskip(NEXT) | instid1(VALU_DEP_1)
	v_dual_add_f32 v41, v42, v46 :: v_dual_add_f32 v32, v29, v43
	v_dual_add_f32 v30, v30, v33 :: v_dual_add_f32 v41, v41, v44
	s_delay_alu instid0(VALU_DEP_3) | instskip(SKIP_1) | instid1(VALU_DEP_3)
	v_dual_add_f32 v28, v28, v31 :: v_dual_add_f32 v29, v37, v48
	v_and_b32_e32 v42, 0xffff, v152
	v_dual_add_f32 v34, v30, v34 :: v_dual_sub_f32 v31, v32, v41
	v_add_f32_e32 v37, v32, v41
	v_dual_add_f32 v32, v36, v40 :: v_dual_add_f32 v33, v38, v47
	s_delay_alu instid0(VALU_DEP_3)
	v_sub_f32_e32 v30, v28, v34
	v_add_f32_e32 v36, v28, v34
	v_add_lshl_u32 v34, v146, v42, 3
	v_add_f32_e32 v28, v35, v39
	ds_store_2addr_b64 v34, v[36:37], v[32:33] offset1:10
	ds_store_2addr_b64 v34, v[28:29], v[30:31] offset0:20 offset1:30
	ds_store_2addr_b64 v34, v[56:57], v[58:59] offset0:40 offset1:50
.LBB0_11:
	s_wait_alu 0xfffe
	s_or_b32 exec_lo, exec_lo, s1
	v_subrev_nc_u32_e32 v28, 60, v141
	v_cmp_gt_u16_e64 s1, 60, v141
	global_wb scope:SCOPE_SE
	s_wait_dscnt 0x0
	s_barrier_signal -1
	s_barrier_wait -1
	global_inv scope:SCOPE_SE
	s_wait_alu 0xf1ff
	v_cndmask_b32_e64 v81, v28, v141, s1
	s_delay_alu instid0(VALU_DEP_1) | instskip(SKIP_1) | instid1(VALU_DEP_2)
	v_mul_i32_i24_e32 v28, 0x78, v81
	v_mul_hi_i32_i24_e32 v29, 0x78, v81
	v_add_co_u32 v60, s1, s2, v28
	s_wait_alu 0xf1ff
	s_delay_alu instid0(VALU_DEP_2)
	v_add_co_ci_u32_e64 v61, s1, s3, v29, s1
	v_cmp_lt_u16_e64 s1, 59, v141
	s_clause 0x7
	global_load_b128 v[52:55], v[60:61], off offset:400
	global_load_b128 v[44:47], v[60:61], off offset:416
	;; [unrolled: 1-line block ×7, first 2 shown]
	global_load_b64 v[117:118], v[60:61], off offset:512
	ds_load_2addr_b64 v[62:65], v144 offset0:120 offset1:240
	v_add_nc_u32_e32 v74, 0x800, v144
	v_add_nc_u32_e32 v73, 0x1000, v144
	ds_load_b64 v[70:71], v145
	ds_load_b64 v[85:86], v144 offset:14400
	v_add_nc_u32_e32 v72, 0x1800, v144
	s_wait_alu 0xf1ff
	v_cndmask_b32_e64 v82, 0, 0x3c0, s1
	v_add_nc_u32_e32 v75, 0x2000, v144
	s_delay_alu instid0(VALU_DEP_2) | instskip(NEXT) | instid1(VALU_DEP_1)
	v_or_b32_e32 v87, v81, v82
	v_add_lshl_u32 v151, v146, v87, 3
	s_wait_loadcnt_dscnt 0x702
	v_mul_f32_e32 v138, v65, v55
	v_mul_f32_e32 v136, v63, v53
	;; [unrolled: 1-line block ×3, first 2 shown]
	ds_load_2addr_b64 v[66:69], v74 offset0:104 offset1:224
	ds_load_2addr_b64 v[77:80], v73 offset0:88 offset1:208
	v_add_nc_u32_e32 v60, 0x2800, v144
	v_add_nc_u32_e32 v61, 0x3000, v144
	v_mul_f32_e32 v153, v64, v55
	v_add_nc_u32_e32 v132, 0xc00, v151
	v_add_nc_u32_e32 v87, 0x400, v151
	v_lshlrev_b32_e32 v76, 3, v141
	v_fma_f32 v62, v62, v52, -v136
	s_wait_loadcnt_dscnt 0x2
	v_mul_f32_e32 v178, v86, v118
	v_mul_f32_e32 v179, v85, v118
	v_fmac_f32_e32 v137, v63, v52
	v_fma_f32 v63, v64, v54, -v138
	v_fmac_f32_e32 v153, v65, v54
	s_delay_alu instid0(VALU_DEP_4)
	v_fmac_f32_e32 v179, v86, v117
	s_wait_dscnt 0x1
	v_mul_f32_e32 v154, v67, v45
	v_mul_f32_e32 v155, v66, v45
	ds_load_2addr_b64 v[81:84], v72 offset0:72 offset1:192
	ds_load_2addr_b64 v[119:122], v75 offset0:56 offset1:176
	;; [unrolled: 1-line block ×4, first 2 shown]
	v_mul_f32_e32 v156, v69, v47
	s_wait_dscnt 0x4
	v_mul_f32_e32 v161, v79, v39
	v_mul_f32_e32 v160, v80, v39
	v_dual_mul_f32 v159, v77, v37 :: v_dual_add_nc_u32 v134, 0x1400, v151
	v_add_nc_u32_e32 v131, 0x800, v151
	v_dual_mul_f32 v158, v78, v37 :: v_dual_add_nc_u32 v133, 0x1000, v151
	v_mul_f32_e32 v157, v68, v47
	v_fma_f32 v64, v66, v44, -v154
	v_add_nc_u32_e32 v135, 0x1800, v151
	global_wb scope:SCOPE_SE
	s_wait_dscnt 0x0
	v_fma_f32 v66, v77, v36, -v158
	s_barrier_signal -1
	s_barrier_wait -1
	global_inv scope:SCOPE_SE
	v_mul_f32_e32 v165, v83, v31
	v_dual_mul_f32 v167, v119, v49 :: v_dual_mul_f32 v172, v126, v43
	v_mul_f32_e32 v174, v128, v33
	v_mul_f32_e32 v176, v130, v35
	v_fma_f32 v65, v68, v46, -v156
	v_fmac_f32_e32 v161, v80, v38
	v_fmac_f32_e32 v165, v84, v30
	v_mul_f32_e32 v169, v121, v51
	v_fma_f32 v80, v125, v42, -v172
	v_dual_mul_f32 v164, v84, v31 :: v_dual_mul_f32 v175, v127, v33
	v_mul_f32_e32 v168, v122, v51
	v_sub_f32_e32 v84, v71, v165
	s_delay_alu instid0(VALU_DEP_4) | instskip(SKIP_3) | instid1(VALU_DEP_4)
	v_dual_sub_f32 v80, v65, v80 :: v_dual_fmac_f32 v169, v122, v50
	v_mul_f32_e32 v163, v81, v29
	v_mul_f32_e32 v162, v82, v29
	;; [unrolled: 1-line block ×3, first 2 shown]
	v_fma_f32 v65, v65, 2.0, -v80
	v_add_f32_e32 v80, v84, v80
	v_dual_fmac_f32 v155, v67, v44 :: v_dual_sub_f32 v86, v153, v169
	v_mul_f32_e32 v171, v123, v41
	v_fma_f32 v67, v79, v38, -v160
	v_fmac_f32_e32 v167, v120, v48
	v_fmac_f32_e32 v159, v78, v36
	v_fma_f32 v78, v121, v50, -v168
	v_mul_f32_e32 v173, v125, v43
	v_fma_f32 v125, v153, 2.0, -v86
	v_fmac_f32_e32 v163, v82, v28
	v_fma_f32 v82, v129, v34, -v176
	v_mul_f32_e32 v177, v129, v35
	v_fma_f32 v68, v81, v28, -v162
	v_fma_f32 v77, v119, v48, -v166
	v_fma_f32 v81, v127, v32, -v174
	v_sub_f32_e32 v82, v67, v82
	v_mul_f32_e32 v170, v124, v41
	v_sub_f32_e32 v78, v63, v78
	v_fma_f32 v71, v71, 2.0, -v84
	v_sub_f32_e32 v81, v66, v81
	v_fma_f32 v67, v67, 2.0, -v82
	v_add_f32_e32 v82, v86, v82
	v_dual_sub_f32 v77, v62, v77 :: v_dual_sub_f32 v120, v137, v167
	s_delay_alu instid0(VALU_DEP_4) | instskip(SKIP_2) | instid1(VALU_DEP_4)
	v_fma_f32 v66, v66, 2.0, -v81
	v_fma_f32 v79, v123, v40, -v170
	v_fma_f32 v63, v63, 2.0, -v78
	v_fma_f32 v62, v62, 2.0, -v77
	v_fmac_f32_e32 v171, v124, v40
	v_fma_f32 v127, v137, 2.0, -v120
	v_fma_f32 v84, v84, 2.0, -v80
	s_delay_alu instid0(VALU_DEP_4) | instskip(NEXT) | instid1(VALU_DEP_4)
	v_dual_sub_f32 v67, v63, v67 :: v_dual_sub_f32 v66, v62, v66
	v_dual_fmac_f32 v157, v69, v46 :: v_dual_sub_f32 v122, v155, v171
	v_fma_f32 v69, v83, v30, -v164
	v_fma_f32 v83, v85, v117, -v178
	s_delay_alu instid0(VALU_DEP_4)
	v_fma_f32 v154, v62, 2.0, -v66
	v_sub_f32_e32 v79, v64, v79
	v_fma_f32 v129, v155, 2.0, -v122
	v_fmac_f32_e32 v175, v128, v32
	v_fma_f32 v86, v86, 2.0, -v82
	v_fmamk_f32 v137, v82, 0x3f3504f3, v80
	v_fma_f32 v64, v64, 2.0, -v79
	v_add_nc_u32_e32 v165, 0x2d00, v144
	v_sub_f32_e32 v121, v159, v175
	v_fmamk_f32 v155, v86, 0xbf3504f3, v84
	s_delay_alu instid0(VALU_DEP_2) | instskip(SKIP_1) | instid1(VALU_DEP_2)
	v_fma_f32 v128, v159, 2.0, -v121
	v_fmac_f32_e32 v173, v126, v42
	v_dual_sub_f32 v121, v77, v121 :: v_dual_sub_f32 v128, v127, v128
	s_delay_alu instid0(VALU_DEP_2) | instskip(NEXT) | instid1(VALU_DEP_2)
	v_sub_f32_e32 v85, v157, v173
	v_fma_f32 v127, v127, 2.0, -v128
	v_sub_f32_e32 v83, v68, v83
	s_delay_alu instid0(VALU_DEP_3) | instskip(NEXT) | instid1(VALU_DEP_2)
	v_fma_f32 v124, v157, 2.0, -v85
	v_fma_f32 v68, v68, 2.0, -v83
	s_delay_alu instid0(VALU_DEP_2) | instskip(NEXT) | instid1(VALU_DEP_1)
	v_dual_fmac_f32 v177, v130, v34 :: v_dual_sub_f32 v124, v71, v124
	v_dual_sub_f32 v68, v64, v68 :: v_dual_sub_f32 v119, v161, v177
	s_delay_alu instid0(VALU_DEP_2) | instskip(SKIP_1) | instid1(VALU_DEP_3)
	v_add_f32_e32 v156, v124, v67
	v_fma_f32 v71, v71, 2.0, -v124
	v_fma_f32 v62, v64, 2.0, -v68
	s_delay_alu instid0(VALU_DEP_4) | instskip(SKIP_3) | instid1(VALU_DEP_4)
	v_fma_f32 v126, v161, 2.0, -v119
	v_sub_f32_e32 v119, v78, v119
	v_sub_f32_e32 v69, v70, v69
	v_fma_f32 v124, v124, 2.0, -v156
	v_sub_f32_e32 v126, v125, v126
	s_delay_alu instid0(VALU_DEP_4) | instskip(NEXT) | instid1(VALU_DEP_4)
	v_fma_f32 v78, v78, 2.0, -v119
	v_sub_f32_e32 v85, v69, v85
	v_fmac_f32_e32 v137, 0x3f3504f3, v119
	s_delay_alu instid0(VALU_DEP_4) | instskip(NEXT) | instid1(VALU_DEP_4)
	v_fma_f32 v125, v125, 2.0, -v126
	v_fmac_f32_e32 v155, 0x3f3504f3, v78
	s_delay_alu instid0(VALU_DEP_4) | instskip(SKIP_4) | instid1(VALU_DEP_4)
	v_fmamk_f32 v136, v119, 0x3f3504f3, v85
	v_fma_f32 v70, v70, 2.0, -v69
	v_fma_f32 v69, v69, 2.0, -v85
	;; [unrolled: 1-line block ×4, first 2 shown]
	v_dual_fmac_f32 v136, 0xbf3504f3, v82 :: v_dual_sub_f32 v65, v70, v65
	s_delay_alu instid0(VALU_DEP_1) | instskip(SKIP_1) | instid1(VALU_DEP_2)
	v_dual_sub_f32 v126, v65, v126 :: v_dual_sub_f32 v123, v163, v179
	v_fma_f32 v70, v70, 2.0, -v65
	v_fma_f32 v130, v163, 2.0, -v123
	s_delay_alu instid0(VALU_DEP_1) | instskip(NEXT) | instid1(VALU_DEP_1)
	v_sub_f32_e32 v130, v129, v130
	v_sub_f32_e32 v82, v66, v130
	v_fma_f32 v64, v129, 2.0, -v130
	v_fmamk_f32 v129, v78, 0xbf3504f3, v69
	v_sub_f32_e32 v78, v154, v62
	v_add_f32_e32 v130, v128, v68
	v_dual_fmamk_f32 v62, v82, 0x3f3504f3, v126 :: v_dual_sub_f32 v123, v79, v123
	v_dual_sub_f32 v80, v127, v64 :: v_dual_add_f32 v83, v122, v83
	v_fmac_f32_e32 v129, 0xbf3504f3, v86
	s_delay_alu instid0(VALU_DEP_3) | instskip(NEXT) | instid1(VALU_DEP_4)
	v_fmac_f32_e32 v62, 0xbf3504f3, v130
	v_fmamk_f32 v138, v123, 0x3f3504f3, v121
	v_fma_f32 v79, v79, 2.0, -v123
	v_fma_f32 v122, v122, 2.0, -v83
	;; [unrolled: 1-line block ×4, first 2 shown]
	v_fmac_f32_e32 v138, 0xbf3504f3, v83
	v_fma_f32 v158, v85, 2.0, -v136
	v_fma_f32 v85, v66, 2.0, -v82
	s_delay_alu instid0(VALU_DEP_3) | instskip(SKIP_3) | instid1(VALU_DEP_3)
	v_fmamk_f32 v64, v138, 0x3f6c835e, v136
	v_fma_f32 v77, v77, 2.0, -v121
	v_fma_f32 v121, v121, 2.0, -v138
	v_add_f32_e32 v81, v120, v81
	v_fmamk_f32 v119, v79, 0xbf3504f3, v77
	s_delay_alu instid0(VALU_DEP_3) | instskip(NEXT) | instid1(VALU_DEP_3)
	v_fmamk_f32 v68, v121, 0xbec3ef15, v158
	v_fmamk_f32 v153, v83, 0x3f3504f3, v81
	v_fma_f32 v120, v120, 2.0, -v81
	s_delay_alu instid0(VALU_DEP_4) | instskip(NEXT) | instid1(VALU_DEP_3)
	v_fmac_f32_e32 v119, 0xbf3504f3, v122
	v_fmac_f32_e32 v153, 0x3f3504f3, v123
	s_delay_alu instid0(VALU_DEP_3) | instskip(NEXT) | instid1(VALU_DEP_2)
	v_fmamk_f32 v157, v122, 0xbf3504f3, v120
	v_fmac_f32_e32 v64, 0xbec3ef15, v153
	v_fma_f32 v63, v63, 2.0, -v67
	s_delay_alu instid0(VALU_DEP_3)
	v_fmac_f32_e32 v157, 0x3f3504f3, v79
	v_fma_f32 v122, v81, 2.0, -v153
	v_fma_f32 v79, v154, 2.0, -v78
	;; [unrolled: 1-line block ×3, first 2 shown]
	v_sub_f32_e32 v83, v70, v63
	v_fmamk_f32 v63, v130, 0x3f3504f3, v156
	v_fma_f32 v154, v120, 2.0, -v157
	v_dual_sub_f32 v123, v71, v125 :: v_dual_fmac_f32 v68, 0xbf6c835e, v122
	s_delay_alu instid0(VALU_DEP_4)
	v_fma_f32 v128, v70, 2.0, -v83
	v_sub_f32_e32 v70, v83, v80
	v_fma_f32 v125, v65, 2.0, -v126
	v_fma_f32 v127, v77, 2.0, -v119
	v_fmac_f32_e32 v63, 0x3f3504f3, v82
	v_fmamk_f32 v82, v154, 0xbf6c835e, v162
	v_fma_f32 v160, v71, 2.0, -v123
	v_dual_add_f32 v71, v123, v78 :: v_dual_fmamk_f32 v78, v157, 0x3ec3ef15, v155
	v_fmamk_f32 v65, v153, 0x3f6c835e, v137
	v_dual_fmamk_f32 v66, v85, 0xbf3504f3, v125 :: v_dual_fmamk_f32 v67, v86, 0xbf3504f3, v124
	v_fmamk_f32 v69, v122, 0xbec3ef15, v159
	v_dual_fmamk_f32 v77, v119, 0x3ec3ef15, v129 :: v_dual_sub_f32 v80, v160, v81
	v_fmamk_f32 v81, v127, 0xbf6c835e, v161
	v_fmac_f32_e32 v78, 0x3f6c835e, v119
	v_fmac_f32_e32 v65, 0x3ec3ef15, v138
	;; [unrolled: 1-line block ×6, first 2 shown]
	v_sub_f32_e32 v79, v128, v79
	v_fma_f32 v85, v126, 2.0, -v62
	v_fma_f32 v86, v156, 2.0, -v63
	;; [unrolled: 1-line block ×4, first 2 shown]
	v_fmac_f32_e32 v81, 0xbec3ef15, v154
	v_fmac_f32_e32 v82, 0x3ec3ef15, v127
	ds_store_2addr_b64 v135, v[62:63], v[64:65] offset0:72 offset1:132
	v_fma_f32 v64, v125, 2.0, -v66
	v_fma_f32 v65, v124, 2.0, -v67
	;; [unrolled: 1-line block ×10, first 2 shown]
	ds_store_2addr_b64 v131, v[85:86], v[119:120] offset0:104 offset1:164
	ds_store_2addr_b64 v133, v[66:67], v[68:69] offset0:88 offset1:148
	v_fma_f32 v66, v161, 2.0, -v81
	v_fma_f32 v67, v162, 2.0, -v82
	ds_store_2addr_b64 v134, v[70:71], v[77:78] offset0:80 offset1:140
	ds_store_2addr_b64 v151, v[64:65], v[121:122] offset0:120 offset1:180
	;; [unrolled: 1-line block ×4, first 2 shown]
	ds_store_2addr_b64 v151, v[62:63], v[66:67] offset1:60
	global_wb scope:SCOPE_SE
	s_wait_dscnt 0x0
	s_barrier_signal -1
	s_barrier_wait -1
	global_inv scope:SCOPE_SE
	s_clause 0x7
	global_load_b64 v[133:134], v76, s[2:3] offset:7600
	global_load_b64 v[127:128], v76, s[2:3] offset:8560
	;; [unrolled: 1-line block ×8, first 2 shown]
	ds_load_2addr_b64 v[77:80], v72 offset0:72 offset1:192
	ds_load_2addr_b64 v[62:65], v75 offset0:56 offset1:176
	;; [unrolled: 1-line block ×4, first 2 shown]
	ds_load_b64 v[60:61], v145
	ds_load_b64 v[70:71], v144 offset:14400
	ds_load_2addr_b64 v[135:138], v144 offset0:120 offset1:240
	ds_load_2addr_b64 v[153:156], v74 offset0:104 offset1:224
	;; [unrolled: 1-line block ×3, first 2 shown]
	v_add_nc_u32_e32 v87, 0x2900, v144
	s_add_nc_u64 s[2:3], s[12:13], 0x3c00
	s_wait_loadcnt_dscnt 0x708
	v_mul_f32_e32 v85, v80, v134
	v_mul_f32_e32 v86, v79, v134
	s_wait_loadcnt_dscnt 0x607
	v_mul_f32_e32 v161, v63, v128
	v_mul_f32_e32 v162, v62, v128
	s_wait_loadcnt 0x5
	v_mul_f32_e32 v163, v65, v132
	v_mul_f32_e32 v164, v64, v132
	s_wait_loadcnt_dscnt 0x406
	v_mul_f32_e32 v166, v67, v122
	s_wait_loadcnt 0x3
	v_dual_mul_f32 v167, v66, v122 :: v_dual_mul_f32 v168, v69, v124
	s_wait_loadcnt_dscnt 0x205
	v_dual_mul_f32 v169, v68, v124 :: v_dual_mul_f32 v170, v82, v130
	s_wait_loadcnt 0x1
	v_dual_mul_f32 v171, v81, v130 :: v_dual_mul_f32 v172, v84, v120
	v_mul_f32_e32 v173, v83, v120
	s_wait_loadcnt_dscnt 0x3
	v_mul_f32_e32 v174, v71, v126
	v_mul_f32_e32 v175, v70, v126
	v_fma_f32 v79, v79, v133, -v85
	v_fmac_f32_e32 v86, v80, v133
	v_fma_f32 v62, v62, v127, -v161
	v_fmac_f32_e32 v162, v63, v127
	;; [unrolled: 2-line block ×8, first 2 shown]
	v_dual_sub_f32 v79, v60, v79 :: v_dual_sub_f32 v80, v61, v86
	s_wait_dscnt 0x2
	v_sub_f32_e32 v81, v135, v62
	v_dual_sub_f32 v82, v136, v162 :: v_dual_sub_f32 v83, v137, v63
	v_sub_f32_e32 v84, v138, v164
	s_wait_dscnt 0x1
	v_dual_sub_f32 v85, v153, v64 :: v_dual_sub_f32 v86, v154, v167
	v_sub_f32_e32 v161, v155, v65
	v_sub_f32_e32 v162, v156, v169
	s_wait_dscnt 0x0
	v_dual_sub_f32 v64, v157, v66 :: v_dual_sub_f32 v65, v158, v171
	v_dual_sub_f32 v68, v159, v67 :: v_dual_sub_f32 v69, v160, v173
	;; [unrolled: 1-line block ×3, first 2 shown]
	v_fma_f32 v163, v60, 2.0, -v79
	v_fma_f32 v164, v61, 2.0, -v80
	;; [unrolled: 1-line block ×16, first 2 shown]
	ds_store_b64 v145, v[163:164]
	ds_store_2addr_b64 v144, v[135:136], v[137:138] offset0:120 offset1:240
	ds_store_2addr_b64 v75, v[81:82], v[83:84] offset0:56 offset1:176
	;; [unrolled: 1-line block ×5, first 2 shown]
	ds_store_2addr_b64 v165, v[161:162], v[68:69] offset1:240
	ds_store_2addr_b64 v72, v[70:71], v[79:80] offset0:72 offset1:192
	ds_store_b64 v144, v[62:63] offset:14400
	global_wb scope:SCOPE_SE
	s_wait_dscnt 0x0
	s_barrier_signal -1
	s_barrier_wait -1
	global_inv scope:SCOPE_SE
	s_clause 0x9
	global_load_b64 v[72:73], v[88:89], off offset:15360
	global_load_b64 v[85:86], v76, s[2:3] offset:1536
	global_load_b64 v[153:154], v76, s[2:3] offset:3072
	;; [unrolled: 1-line block ×9, first 2 shown]
	ds_load_b64 v[74:75], v145
	s_wait_loadcnt_dscnt 0x900
	v_mul_f32_e32 v77, v75, v73
	v_mul_f32_e32 v78, v74, v73
	s_delay_alu instid0(VALU_DEP_2) | instskip(NEXT) | instid1(VALU_DEP_2)
	v_fma_f32 v77, v74, v72, -v77
	v_fmac_f32_e32 v78, v75, v72
	ds_store_b64 v145, v[77:78]
	ds_load_2addr_stride64_b64 v[72:75], v144 offset0:3 offset1:6
	ds_load_2addr_stride64_b64 v[77:80], v144 offset0:9 offset1:12
	;; [unrolled: 1-line block ×4, first 2 shown]
	ds_load_b64 v[169:170], v144 offset:13824
	s_wait_loadcnt_dscnt 0x804
	v_mul_f32_e32 v171, v73, v86
	v_mul_f32_e32 v87, v72, v86
	s_wait_loadcnt 0x7
	v_mul_f32_e32 v173, v75, v154
	v_mul_f32_e32 v172, v74, v154
	s_wait_loadcnt_dscnt 0x603
	v_mul_f32_e32 v174, v78, v156
	s_wait_loadcnt 0x5
	v_dual_mul_f32 v154, v77, v156 :: v_dual_mul_f32 v175, v80, v158
	v_mul_f32_e32 v156, v79, v158
	s_wait_loadcnt_dscnt 0x402
	v_mul_f32_e32 v176, v82, v160
	s_wait_loadcnt 0x3
	v_dual_mul_f32 v158, v81, v160 :: v_dual_mul_f32 v177, v84, v162
	;; [unrolled: 5-line block ×3, first 2 shown]
	v_mul_f32_e32 v164, v137, v166
	s_wait_loadcnt_dscnt 0x0
	v_mul_f32_e32 v180, v170, v168
	v_mul_f32_e32 v166, v169, v168
	v_fma_f32 v86, v72, v85, -v171
	v_fmac_f32_e32 v87, v73, v85
	v_fma_f32 v171, v74, v153, -v173
	v_fmac_f32_e32 v172, v75, v153
	v_fmac_f32_e32 v166, v170, v167
	v_fma_f32 v153, v77, v155, -v174
	v_fmac_f32_e32 v154, v78, v155
	v_fma_f32 v155, v79, v157, -v175
	;; [unrolled: 2-line block ×7, first 2 shown]
	ds_store_2addr_stride64_b64 v144, v[86:87], v[171:172] offset0:3 offset1:6
	ds_store_2addr_stride64_b64 v144, v[153:154], v[155:156] offset0:9 offset1:12
	;; [unrolled: 1-line block ×4, first 2 shown]
	ds_store_b64 v144, v[165:166] offset:13824
	s_and_saveexec_b32 s1, vcc_lo
	s_cbranch_execz .LBB0_13
; %bb.12:
	s_wait_alu 0xfffe
	v_add_co_u32 v72, s2, s2, v76
	s_wait_alu 0xf1ff
	v_add_co_ci_u32_e64 v73, null, s3, 0, s2
	s_clause 0x9
	global_load_b64 v[153:154], v[72:73], off offset:960
	global_load_b64 v[155:156], v[72:73], off offset:2496
	;; [unrolled: 1-line block ×10, first 2 shown]
	v_add_nc_u32_e32 v174, 0x1c0, v144
	ds_load_2addr_stride64_b64 v[72:75], v174 offset0:1 offset1:4
	ds_load_2addr_stride64_b64 v[76:79], v174 offset0:7 offset1:10
	;; [unrolled: 1-line block ×5, first 2 shown]
	s_wait_loadcnt_dscnt 0x904
	v_mul_f32_e32 v175, v73, v154
	s_wait_loadcnt 0x8
	v_dual_mul_f32 v173, v72, v154 :: v_dual_mul_f32 v176, v75, v156
	s_wait_loadcnt_dscnt 0x703
	v_dual_mul_f32 v154, v74, v156 :: v_dual_mul_f32 v177, v77, v158
	s_delay_alu instid0(VALU_DEP_2)
	v_dual_mul_f32 v156, v76, v158 :: v_dual_fmac_f32 v173, v73, v153
	s_wait_loadcnt_dscnt 0x502
	v_dual_mul_f32 v178, v79, v160 :: v_dual_mul_f32 v179, v81, v162
	s_wait_loadcnt_dscnt 0x301
	v_dual_mul_f32 v158, v78, v160 :: v_dual_mul_f32 v181, v85, v166
	v_mul_f32_e32 v160, v80, v162
	s_wait_loadcnt_dscnt 0x100
	v_dual_mul_f32 v180, v83, v164 :: v_dual_mul_f32 v183, v136, v170
	v_mul_f32_e32 v162, v82, v164
	v_mul_f32_e32 v164, v84, v166
	;; [unrolled: 1-line block ×5, first 2 shown]
	s_wait_loadcnt 0x0
	v_mul_f32_e32 v184, v138, v172
	v_mul_f32_e32 v170, v137, v172
	v_fma_f32 v172, v72, v153, -v175
	v_fma_f32 v153, v74, v155, -v176
	v_fmac_f32_e32 v154, v75, v155
	v_fma_f32 v155, v76, v157, -v177
	v_fmac_f32_e32 v156, v77, v157
	;; [unrolled: 2-line block ×9, first 2 shown]
	ds_store_2addr_stride64_b64 v174, v[172:173], v[153:154] offset0:1 offset1:4
	ds_store_2addr_stride64_b64 v174, v[155:156], v[157:158] offset0:7 offset1:10
	;; [unrolled: 1-line block ×5, first 2 shown]
.LBB0_13:
	s_wait_alu 0xfffe
	s_or_b32 exec_lo, exec_lo, s1
	global_wb scope:SCOPE_SE
	s_wait_dscnt 0x0
	s_barrier_signal -1
	s_barrier_wait -1
	global_inv scope:SCOPE_SE
	ds_load_2addr_stride64_b64 v[84:87], v144 offset0:3 offset1:6
	ds_load_2addr_stride64_b64 v[80:83], v144 offset0:9 offset1:12
	;; [unrolled: 1-line block ×4, first 2 shown]
	ds_load_b64 v[135:136], v145
	ds_load_b64 v[137:138], v144 offset:13824
	s_and_saveexec_b32 s1, vcc_lo
	s_cbranch_execz .LBB0_15
; %bb.14:
	v_lshlrev_b32_e32 v24, 3, v146
	v_add_nc_u32_e32 v25, 0x1c0, v144
	s_delay_alu instid0(VALU_DEP_2) | instskip(NEXT) | instid1(VALU_DEP_1)
	v_lshl_add_u32 v24, v141, 3, v24
	v_add_nc_u32_e32 v24, 0x1c0, v24
	ds_load_2addr_stride64_b64 v[60:63], v25 offset0:1 offset1:16
	ds_load_2addr_stride64_b64 v[64:67], v24 offset0:4 offset1:7
	;; [unrolled: 1-line block ×5, first 2 shown]
.LBB0_15:
	s_wait_alu 0xfffe
	s_or_b32 exec_lo, exec_lo, s1
	s_wait_dscnt 0x3
	v_dual_add_f32 v153, v82, v78 :: v_dual_sub_f32 v156, v83, v79
	s_wait_dscnt 0x2
	v_add_f32_e32 v159, v86, v74
	global_wb scope:SCOPE_SE
	s_wait_dscnt 0x0
	s_barrier_signal -1
	v_fma_f32 v158, -0.5, v153, v135
	v_sub_f32_e32 v157, v86, v82
	v_sub_f32_e32 v153, v74, v78
	v_add_f32_e32 v154, v135, v86
	s_barrier_wait -1
	global_inv scope:SCOPE_SE
	v_add_f32_e32 v153, v157, v153
	v_dual_sub_f32 v155, v87, v75 :: v_dual_add_f32 v154, v154, v82
	v_sub_f32_e32 v160, v82, v86
	v_sub_f32_e32 v157, v78, v74
	s_delay_alu instid0(VALU_DEP_3) | instskip(SKIP_2) | instid1(VALU_DEP_3)
	v_dual_fmamk_f32 v161, v155, 0xbf737871, v158 :: v_dual_add_f32 v154, v154, v78
	v_fmac_f32_e32 v158, 0x3f737871, v155
	v_sub_f32_e32 v78, v82, v78
	v_dual_sub_f32 v82, v87, v83 :: v_dual_fmac_f32 v161, 0xbf167918, v156
	s_delay_alu instid0(VALU_DEP_4) | instskip(SKIP_4) | instid1(VALU_DEP_4)
	v_add_f32_e32 v162, v154, v74
	v_add_f32_e32 v154, v83, v79
	v_fma_f32 v135, -0.5, v159, v135
	v_fmac_f32_e32 v158, 0x3f167918, v156
	v_dual_fmac_f32 v161, 0x3e9e377a, v153 :: v_dual_sub_f32 v74, v86, v74
	v_fma_f32 v163, -0.5, v154, v136
	s_delay_alu instid0(VALU_DEP_4) | instskip(SKIP_1) | instid1(VALU_DEP_3)
	v_fmamk_f32 v159, v156, 0x3f737871, v135
	v_dual_fmac_f32 v135, 0xbf737871, v156 :: v_dual_add_f32 v156, v136, v87
	v_dual_add_f32 v157, v160, v157 :: v_dual_fmamk_f32 v160, v74, 0x3f737871, v163
	s_delay_alu instid0(VALU_DEP_3) | instskip(SKIP_1) | instid1(VALU_DEP_4)
	v_fmac_f32_e32 v159, 0xbf167918, v155
	v_dual_fmac_f32 v158, 0x3e9e377a, v153 :: v_dual_sub_f32 v153, v75, v79
	v_dual_add_f32 v86, v156, v83 :: v_dual_fmac_f32 v163, 0xbf737871, v74
	s_delay_alu instid0(VALU_DEP_3) | instskip(SKIP_1) | instid1(VALU_DEP_3)
	v_dual_add_f32 v154, v87, v75 :: v_dual_fmac_f32 v159, 0x3e9e377a, v157
	v_dual_fmac_f32 v135, 0x3f167918, v155 :: v_dual_fmac_f32 v160, 0x3f167918, v78
	v_dual_add_f32 v86, v86, v79 :: v_dual_fmac_f32 v163, 0xbf167918, v78
	v_dual_add_f32 v82, v82, v153 :: v_dual_sub_f32 v83, v83, v87
	s_delay_alu instid0(VALU_DEP_3) | instskip(NEXT) | instid1(VALU_DEP_2)
	v_dual_fmac_f32 v136, -0.5, v154 :: v_dual_fmac_f32 v135, 0x3e9e377a, v157
	v_dual_add_f32 v156, v86, v75 :: v_dual_fmac_f32 v163, 0x3e9e377a, v82
	v_dual_fmac_f32 v160, 0x3e9e377a, v82 :: v_dual_sub_f32 v75, v79, v75
	s_delay_alu instid0(VALU_DEP_3) | instskip(SKIP_3) | instid1(VALU_DEP_4)
	v_fmamk_f32 v164, v78, 0xbf737871, v136
	v_fmac_f32_e32 v136, 0x3f737871, v78
	v_add_f32_e32 v86, v76, v72
	v_sub_f32_e32 v153, v76, v80
	v_dual_add_f32 v75, v83, v75 :: v_dual_fmac_f32 v164, 0x3f167918, v74
	s_delay_alu instid0(VALU_DEP_4) | instskip(NEXT) | instid1(VALU_DEP_4)
	v_dual_add_f32 v83, v80, v137 :: v_dual_fmac_f32 v136, 0xbf167918, v74
	v_fma_f32 v79, -0.5, v86, v84
	v_sub_f32_e32 v86, v77, v73
	s_delay_alu instid0(VALU_DEP_4)
	v_fmac_f32_e32 v164, 0x3e9e377a, v75
	v_sub_f32_e32 v154, v72, v137
	v_fmac_f32_e32 v136, 0x3e9e377a, v75
	v_fma_f32 v75, -0.5, v83, v84
	v_add_f32_e32 v82, v84, v80
	v_sub_f32_e32 v83, v80, v76
	s_delay_alu instid0(VALU_DEP_3) | instskip(NEXT) | instid1(VALU_DEP_3)
	v_dual_sub_f32 v80, v80, v137 :: v_dual_fmamk_f32 v87, v86, 0x3f737871, v75
	v_add_f32_e32 v78, v82, v76
	v_sub_f32_e32 v82, v81, v138
	v_sub_f32_e32 v84, v137, v72
	s_delay_alu instid0(VALU_DEP_2)
	v_dual_add_f32 v74, v78, v72 :: v_dual_fmac_f32 v87, 0xbf167918, v82
	v_sub_f32_e32 v72, v76, v72
	v_fmamk_f32 v78, v82, 0xbf737871, v79
	v_fmac_f32_e32 v79, 0x3f737871, v82
	v_dual_add_f32 v83, v83, v84 :: v_dual_add_f32 v84, v153, v154
	v_sub_f32_e32 v153, v73, v138
	s_delay_alu instid0(VALU_DEP_3) | instskip(NEXT) | instid1(VALU_DEP_3)
	v_fmac_f32_e32 v79, 0x3f167918, v86
	v_fmac_f32_e32 v87, 0x3e9e377a, v84
	s_delay_alu instid0(VALU_DEP_2) | instskip(SKIP_1) | instid1(VALU_DEP_2)
	v_dual_fmac_f32 v79, 0x3e9e377a, v83 :: v_dual_add_f32 v74, v74, v137
	v_fmac_f32_e32 v75, 0xbf737871, v86
	v_sub_f32_e32 v155, v162, v74
	s_delay_alu instid0(VALU_DEP_2) | instskip(NEXT) | instid1(VALU_DEP_1)
	v_fmac_f32_e32 v75, 0x3f167918, v82
	v_dual_add_f32 v82, v81, v138 :: v_dual_fmac_f32 v75, 0x3e9e377a, v84
	s_delay_alu instid0(VALU_DEP_1) | instskip(SKIP_3) | instid1(VALU_DEP_4)
	v_fma_f32 v76, -0.5, v82, v85
	v_add_f32_e32 v82, v85, v81
	v_sub_f32_e32 v84, v81, v77
	v_sub_f32_e32 v81, v77, v81
	v_fmamk_f32 v137, v72, 0xbf737871, v76
	v_fmac_f32_e32 v78, 0xbf167918, v86
	v_add_f32_e32 v86, v77, v73
	s_delay_alu instid0(VALU_DEP_4) | instskip(SKIP_1) | instid1(VALU_DEP_4)
	v_add_f32_e32 v81, v81, v153
	v_dual_add_f32 v77, v82, v77 :: v_dual_fmac_f32 v76, 0x3f737871, v72
	v_fmac_f32_e32 v78, 0x3e9e377a, v83
	s_delay_alu instid0(VALU_DEP_4) | instskip(NEXT) | instid1(VALU_DEP_1)
	v_fma_f32 v83, -0.5, v86, v85
	v_dual_sub_f32 v86, v138, v73 :: v_dual_fmamk_f32 v85, v80, 0x3f737871, v83
	s_delay_alu instid0(VALU_DEP_1) | instskip(NEXT) | instid1(VALU_DEP_1)
	v_dual_add_f32 v84, v84, v86 :: v_dual_fmac_f32 v85, 0x3f167918, v72
	v_fmac_f32_e32 v85, 0x3e9e377a, v84
	v_fmac_f32_e32 v83, 0xbf737871, v80
	v_fmac_f32_e32 v137, 0x3f167918, v80
	s_delay_alu instid0(VALU_DEP_2) | instskip(NEXT) | instid1(VALU_DEP_2)
	v_fmac_f32_e32 v83, 0xbf167918, v72
	v_fmac_f32_e32 v137, 0x3e9e377a, v81
	v_add_f32_e32 v72, v77, v73
	v_mul_f32_e32 v73, 0xbf167918, v85
	s_delay_alu instid0(VALU_DEP_4) | instskip(NEXT) | instid1(VALU_DEP_3)
	v_fmac_f32_e32 v83, 0x3e9e377a, v84
	v_dual_mul_f32 v77, 0xbf737871, v137 :: v_dual_add_f32 v72, v72, v138
	v_mul_f32_e32 v166, 0x3e9e377a, v137
	s_delay_alu instid0(VALU_DEP_3) | instskip(NEXT) | instid1(VALU_DEP_3)
	v_mul_f32_e32 v138, 0xbf167918, v83
	v_fmac_f32_e32 v77, 0x3e9e377a, v87
	v_fmac_f32_e32 v73, 0x3f4f1bbd, v78
	v_mul_f32_e32 v167, 0xbf4f1bbd, v83
	s_delay_alu instid0(VALU_DEP_4) | instskip(NEXT) | instid1(VALU_DEP_4)
	v_fmac_f32_e32 v138, 0xbf4f1bbd, v79
	v_add_f32_e32 v84, v159, v77
	s_delay_alu instid0(VALU_DEP_4) | instskip(NEXT) | instid1(VALU_DEP_3)
	v_dual_fmac_f32 v166, 0x3f737871, v87 :: v_dual_sub_f32 v157, v161, v73
	v_dual_add_f32 v82, v161, v73 :: v_dual_add_f32 v153, v158, v138
	v_dual_fmac_f32 v76, 0xbf167918, v80 :: v_dual_sub_f32 v159, v159, v77
	v_dual_add_f32 v80, v162, v74 :: v_dual_fmac_f32 v167, 0x3f167918, v79
	s_delay_alu instid0(VALU_DEP_2) | instskip(SKIP_3) | instid1(VALU_DEP_4)
	v_dual_add_f32 v73, v66, v60 :: v_dual_fmac_f32 v76, 0x3e9e377a, v81
	v_add_f32_e32 v81, v156, v72
	v_sub_f32_e32 v156, v156, v72
	v_sub_f32_e32 v79, v24, v56
	v_add_f32_e32 v73, v70, v73
	v_mul_f32_e32 v165, 0xbf737871, v76
	v_mul_f32_e32 v76, 0xbe9e377a, v76
	v_add_f32_e32 v162, v57, v71
	s_delay_alu instid0(VALU_DEP_3) | instskip(NEXT) | instid1(VALU_DEP_3)
	v_fmac_f32_e32 v165, 0xbe9e377a, v75
	v_fmac_f32_e32 v76, 0x3f737871, v75
	v_mul_f32_e32 v78, 0x3f167918, v78
	v_add_f32_e32 v74, v56, v70
	s_delay_alu instid0(VALU_DEP_4) | instskip(NEXT) | instid1(VALU_DEP_3)
	v_dual_add_f32 v75, v24, v66 :: v_dual_add_f32 v86, v135, v165
	v_dual_add_f32 v87, v136, v76 :: v_dual_fmac_f32 v78, 0x3f4f1bbd, v85
	v_sub_f32_e32 v135, v135, v165
	s_delay_alu instid0(VALU_DEP_4) | instskip(SKIP_1) | instid1(VALU_DEP_4)
	v_fma_f32 v72, -0.5, v74, v60
	v_dual_sub_f32 v77, v67, v25 :: v_dual_sub_f32 v136, v136, v76
	v_dual_add_f32 v83, v160, v78 :: v_dual_add_f32 v154, v163, v167
	v_sub_f32_e32 v137, v158, v138
	v_sub_f32_e32 v158, v160, v78
	;; [unrolled: 1-line block ×4, first 2 shown]
	v_fmac_f32_e32 v60, -0.5, v75
	v_sub_f32_e32 v160, v164, v166
	v_dual_add_f32 v74, v56, v73 :: v_dual_fmamk_f32 v73, v77, 0xbf737871, v72
	s_delay_alu instid0(VALU_DEP_4) | instskip(SKIP_4) | instid1(VALU_DEP_3)
	v_add_f32_e32 v78, v79, v78
	v_sub_f32_e32 v75, v70, v66
	v_dual_sub_f32 v79, v56, v24 :: v_dual_sub_f32 v138, v163, v167
	v_fmamk_f32 v161, v76, 0x3f737871, v60
	v_dual_fmac_f32 v73, 0xbf167918, v76 :: v_dual_add_f32 v74, v24, v74
	v_dual_fmac_f32 v72, 0x3f737871, v77 :: v_dual_add_f32 v79, v79, v75
	s_delay_alu instid0(VALU_DEP_3) | instskip(SKIP_2) | instid1(VALU_DEP_4)
	v_fmac_f32_e32 v161, 0xbf167918, v77
	v_add_f32_e32 v163, v67, v61
	v_fma_f32 v75, -0.5, v162, v61
	v_fmac_f32_e32 v72, 0x3f167918, v76
	v_add_f32_e32 v162, v25, v67
	v_fmac_f32_e32 v161, 0x3e9e377a, v79
	v_dual_fmac_f32 v73, 0x3e9e377a, v78 :: v_dual_sub_f32 v24, v66, v24
	s_delay_alu instid0(VALU_DEP_4)
	v_fmac_f32_e32 v72, 0x3e9e377a, v78
	v_sub_f32_e32 v56, v70, v56
	v_sub_f32_e32 v70, v67, v71
	;; [unrolled: 1-line block ×3, first 2 shown]
	v_dual_fmac_f32 v60, 0xbf737871, v76 :: v_dual_fmac_f32 v61, -0.5, v162
	v_add_f32_e32 v76, v71, v163
	v_fmamk_f32 v66, v24, 0x3f737871, v75
	v_fmac_f32_e32 v75, 0xbf737871, v24
	s_delay_alu instid0(VALU_DEP_4) | instskip(NEXT) | instid1(VALU_DEP_4)
	v_dual_fmac_f32 v60, 0x3f167918, v77 :: v_dual_add_f32 v77, v78, v70
	v_dual_add_f32 v76, v57, v76 :: v_dual_sub_f32 v67, v71, v67
	v_add_f32_e32 v71, v62, v58
	v_add_f32_e32 v85, v164, v166
	ds_store_b128 v147, v[80:83]
	ds_store_b128 v147, v[84:87] offset:16
	ds_store_b128 v147, v[153:156] offset:32
	;; [unrolled: 1-line block ×4, first 2 shown]
	v_add_f32_e32 v70, v25, v76
	v_sub_f32_e32 v25, v57, v25
	v_dual_add_f32 v57, v68, v64 :: v_dual_sub_f32 v76, v63, v59
	s_delay_alu instid0(VALU_DEP_2) | instskip(SKIP_2) | instid1(VALU_DEP_4)
	v_dual_add_f32 v25, v25, v67 :: v_dual_fmac_f32 v66, 0x3f167918, v56
	v_fmamk_f32 v162, v56, 0xbf737871, v61
	v_fmac_f32_e32 v75, 0xbf167918, v56
	v_dual_fmac_f32 v61, 0x3f737871, v56 :: v_dual_add_f32 v56, v62, v57
	v_fma_f32 v57, -0.5, v71, v64
	s_delay_alu instid0(VALU_DEP_4) | instskip(NEXT) | instid1(VALU_DEP_4)
	v_dual_sub_f32 v71, v69, v27 :: v_dual_fmac_f32 v162, 0x3f167918, v24
	v_fmac_f32_e32 v75, 0x3e9e377a, v77
	s_delay_alu instid0(VALU_DEP_4) | instskip(NEXT) | instid1(VALU_DEP_3)
	v_fmac_f32_e32 v61, 0xbf167918, v24
	v_dual_add_f32 v24, v58, v56 :: v_dual_fmamk_f32 v163, v71, 0xbf737871, v57
	v_fmac_f32_e32 v57, 0x3f737871, v71
	v_fmac_f32_e32 v66, 0x3e9e377a, v77
	v_dual_add_f32 v56, v26, v68 :: v_dual_sub_f32 v77, v68, v62
	s_delay_alu instid0(VALU_DEP_4) | instskip(SKIP_1) | instid1(VALU_DEP_3)
	v_dual_sub_f32 v78, v26, v58 :: v_dual_fmac_f32 v163, 0xbf167918, v76
	v_add_f32_e32 v67, v26, v24
	v_fmac_f32_e32 v64, -0.5, v56
	v_sub_f32_e32 v56, v62, v68
	s_delay_alu instid0(VALU_DEP_4) | instskip(SKIP_2) | instid1(VALU_DEP_3)
	v_dual_add_f32 v24, v78, v77 :: v_dual_fmac_f32 v57, 0x3f167918, v76
	v_dual_sub_f32 v77, v58, v26 :: v_dual_fmac_f32 v60, 0x3e9e377a, v79
	v_dual_fmac_f32 v61, 0x3e9e377a, v25 :: v_dual_sub_f32 v58, v62, v58
	v_fmac_f32_e32 v57, 0x3e9e377a, v24
	s_delay_alu instid0(VALU_DEP_3) | instskip(SKIP_3) | instid1(VALU_DEP_1)
	v_add_f32_e32 v56, v77, v56
	v_add_f32_e32 v77, v69, v65
	v_dual_fmac_f32 v162, 0x3e9e377a, v25 :: v_dual_fmac_f32 v163, 0x3e9e377a, v24
	v_fmamk_f32 v25, v76, 0x3f737871, v64
	v_fmac_f32_e32 v25, 0xbf167918, v71
	v_fmac_f32_e32 v64, 0xbf737871, v76
	v_add_f32_e32 v76, v27, v69
	v_add_f32_e32 v78, v63, v59
	s_delay_alu instid0(VALU_DEP_1) | instskip(NEXT) | instid1(VALU_DEP_3)
	v_fma_f32 v78, -0.5, v78, v65
	v_fmac_f32_e32 v65, -0.5, v76
	s_delay_alu instid0(VALU_DEP_1) | instskip(SKIP_2) | instid1(VALU_DEP_3)
	v_dual_fmamk_f32 v79, v58, 0xbf737871, v65 :: v_dual_sub_f32 v26, v68, v26
	v_dual_fmac_f32 v25, 0x3e9e377a, v56 :: v_dual_sub_f32 v24, v63, v69
	v_sub_f32_e32 v68, v59, v27
	v_dual_fmac_f32 v64, 0x3f167918, v71 :: v_dual_fmac_f32 v79, 0x3f167918, v26
	v_sub_f32_e32 v69, v69, v63
	s_delay_alu instid0(VALU_DEP_3) | instskip(NEXT) | instid1(VALU_DEP_1)
	v_dual_sub_f32 v71, v27, v59 :: v_dual_add_f32 v24, v68, v24
	v_fmac_f32_e32 v79, 0x3e9e377a, v24
	v_dual_fmamk_f32 v62, v26, 0x3f737871, v78 :: v_dual_fmac_f32 v65, 0x3f737871, v58
	s_delay_alu instid0(VALU_DEP_2) | instskip(NEXT) | instid1(VALU_DEP_2)
	v_mul_f32_e32 v164, 0x3e9e377a, v79
	v_fmac_f32_e32 v62, 0x3f167918, v58
	s_delay_alu instid0(VALU_DEP_3) | instskip(NEXT) | instid1(VALU_DEP_1)
	v_fmac_f32_e32 v65, 0xbf167918, v26
	v_dual_fmac_f32 v65, 0x3e9e377a, v24 :: v_dual_add_f32 v24, v63, v77
	v_mul_f32_e32 v63, 0xbf737871, v79
	v_fmac_f32_e32 v64, 0x3e9e377a, v56
	v_add_f32_e32 v56, v71, v69
	s_delay_alu instid0(VALU_DEP_4) | instskip(NEXT) | instid1(VALU_DEP_4)
	v_mul_f32_e32 v77, 0xbe9e377a, v65
	v_fmac_f32_e32 v63, 0x3e9e377a, v25
	s_delay_alu instid0(VALU_DEP_2) | instskip(NEXT) | instid1(VALU_DEP_4)
	v_dual_fmac_f32 v164, 0x3f737871, v25 :: v_dual_fmac_f32 v77, 0x3f737871, v64
	v_fmac_f32_e32 v62, 0x3e9e377a, v56
	s_delay_alu instid0(VALU_DEP_2) | instskip(NEXT) | instid1(VALU_DEP_2)
	v_dual_fmac_f32 v78, 0xbf737871, v26 :: v_dual_add_f32 v25, v162, v164
	v_mul_f32_e32 v69, 0xbf167918, v62
	s_delay_alu instid0(VALU_DEP_1) | instskip(NEXT) | instid1(VALU_DEP_1)
	v_dual_fmac_f32 v69, 0x3f4f1bbd, v163 :: v_dual_add_f32 v24, v59, v24
	v_add_f32_e32 v76, v27, v24
	s_delay_alu instid0(VALU_DEP_4) | instskip(SKIP_1) | instid1(VALU_DEP_3)
	v_dual_fmac_f32 v78, 0xbf167918, v58 :: v_dual_add_f32 v27, v61, v77
	v_dual_add_f32 v24, v161, v63 :: v_dual_mul_f32 v79, 0x3f4f1bbd, v62
	v_sub_f32_e32 v59, v70, v76
	v_sub_f32_e32 v58, v74, v67
	s_delay_alu instid0(VALU_DEP_3) | instskip(SKIP_1) | instid1(VALU_DEP_1)
	v_dual_sub_f32 v62, v73, v69 :: v_dual_fmac_f32 v79, 0x3f167918, v163
	v_fmac_f32_e32 v78, 0x3e9e377a, v56
	v_mul_f32_e32 v71, 0xbf167918, v78
	s_delay_alu instid0(VALU_DEP_1) | instskip(NEXT) | instid1(VALU_DEP_1)
	v_dual_mul_f32 v78, 0xbf4f1bbd, v78 :: v_dual_fmac_f32 v71, 0xbf4f1bbd, v57
	v_fmac_f32_e32 v78, 0x3f167918, v57
	v_dual_mul_f32 v68, 0xbf737871, v65 :: v_dual_sub_f32 v65, v162, v164
	s_delay_alu instid0(VALU_DEP_2) | instskip(NEXT) | instid1(VALU_DEP_2)
	v_dual_add_f32 v56, v72, v71 :: v_dual_add_f32 v57, v75, v78
	v_fmac_f32_e32 v68, 0xbe9e377a, v64
	v_sub_f32_e32 v64, v161, v63
	s_delay_alu instid0(VALU_DEP_2)
	v_dual_sub_f32 v63, v66, v79 :: v_dual_add_f32 v26, v60, v68
	s_and_saveexec_b32 s1, vcc_lo
	s_cbranch_execz .LBB0_17
; %bb.16:
	v_dual_add_f32 v82, v66, v79 :: v_dual_add_f32 v81, v73, v69
	v_dual_add_f32 v80, v76, v70 :: v_dual_sub_f32 v73, v61, v77
	v_dual_add_f32 v79, v67, v74 :: v_dual_sub_f32 v74, v72, v71
	v_add_lshl_u32 v66, v146, v148, 3
	v_dual_sub_f32 v75, v75, v78 :: v_dual_sub_f32 v72, v60, v68
	ds_store_b128 v66, v[79:82]
	ds_store_b128 v66, v[24:27] offset:16
	ds_store_b128 v66, v[56:59] offset:32
	;; [unrolled: 1-line block ×4, first 2 shown]
.LBB0_17:
	s_wait_alu 0xfffe
	s_or_b32 exec_lo, exec_lo, s1
	v_add_nc_u32_e32 v60, 0x300, v144
	v_add_nc_u32_e32 v61, 0xd00, v144
	;; [unrolled: 1-line block ×5, first 2 shown]
	global_wb scope:SCOPE_SE
	s_wait_dscnt 0x0
	s_barrier_signal -1
	s_barrier_wait -1
	global_inv scope:SCOPE_SE
	ds_load_2addr_b64 v[66:69], v60 offset0:24 offset1:224
	ds_load_2addr_b64 v[82:85], v61 offset0:24 offset1:224
	;; [unrolled: 1-line block ×5, first 2 shown]
	ds_load_b64 v[60:61], v145
	ds_load_b64 v[86:87], v144 offset:13760
	s_and_saveexec_b32 s1, s0
	s_cbranch_execz .LBB0_19
; %bb.18:
	v_add_nc_u32_e32 v62, 0x180, v144
	ds_load_2addr_stride64_b64 v[24:27], v62 offset0:3 offset1:8
	ds_load_2addr_stride64_b64 v[56:59], v62 offset0:13 offset1:18
	;; [unrolled: 1-line block ×3, first 2 shown]
.LBB0_19:
	s_wait_alu 0xfffe
	s_or_b32 exec_lo, exec_lo, s1
	s_wait_dscnt 0x6
	v_dual_mul_f32 v137, v21, v69 :: v_dual_add_nc_u32 v136, 0x1680, v144
	s_wait_dscnt 0x5
	v_dual_mul_f32 v138, v21, v68 :: v_dual_mul_f32 v147, v23, v85
	v_mul_f32_e32 v23, v23, v84
	v_add_nc_u32_e32 v135, 0xf00, v144
	s_wait_dscnt 0x4
	v_dual_fmac_f32 v137, v20, v68 :: v_dual_mul_f32 v68, v17, v81
	v_fmac_f32_e32 v147, v22, v84
	v_fma_f32 v22, v22, v85, -v23
	s_wait_dscnt 0x3
	v_mul_f32_e32 v23, v19, v77
	v_fma_f32 v20, v20, v69, -v138
	v_fmac_f32_e32 v68, v16, v80
	v_mul_f32_e32 v19, v19, v76
	v_add_nc_u32_e32 v21, 0x1a40, v144
	v_fmac_f32_e32 v23, v18, v76
	s_wait_dscnt 0x2
	v_dual_mul_f32 v69, v116, v72 :: v_dual_mul_f32 v76, v13, v83
	v_fma_f32 v18, v18, v77, -v19
	global_wb scope:SCOPE_SE
	s_wait_dscnt 0x0
	s_barrier_signal -1
	v_fma_f32 v19, v115, v73, -v69
	v_mul_f32_e32 v69, v15, v79
	v_mul_f32_e32 v15, v15, v78
	v_fmac_f32_e32 v76, v12, v82
	s_barrier_wait -1
	global_inv scope:SCOPE_SE
	v_dual_fmac_f32 v69, v14, v78 :: v_dual_mul_f32 v78, v11, v71
	v_mul_f32_e32 v17, v17, v80
	v_mul_f32_e32 v11, v11, v70
	v_fma_f32 v77, v14, v79, -v15
	s_delay_alu instid0(VALU_DEP_4) | instskip(NEXT) | instid1(VALU_DEP_4)
	v_fmac_f32_e32 v78, v10, v70
	v_fma_f32 v16, v16, v81, -v17
	v_mul_f32_e32 v17, v116, v73
	v_mul_f32_e32 v73, v9, v75
	;; [unrolled: 1-line block ×3, first 2 shown]
	v_fma_f32 v70, v10, v71, -v11
	v_add_f32_e32 v10, v60, v147
	s_delay_alu instid0(VALU_DEP_4) | instskip(NEXT) | instid1(VALU_DEP_4)
	v_fmac_f32_e32 v73, v8, v74
	v_fma_f32 v74, v8, v75, -v9
	v_mul_f32_e32 v8, v114, v86
	s_delay_alu instid0(VALU_DEP_4) | instskip(SKIP_2) | instid1(VALU_DEP_4)
	v_add_f32_e32 v14, v10, v23
	v_dual_add_f32 v10, v61, v22 :: v_dual_add_f32 v9, v147, v23
	v_mul_f32_e32 v13, v13, v82
	v_fma_f32 v71, v113, v87, -v8
	v_add_f32_e32 v8, v22, v18
	s_delay_alu instid0(VALU_DEP_4) | instskip(SKIP_1) | instid1(VALU_DEP_3)
	v_fma_f32 v15, -0.5, v9, v60
	v_sub_f32_e32 v9, v22, v18
	v_dual_fmac_f32 v61, -0.5, v8 :: v_dual_sub_f32 v8, v147, v23
	s_delay_alu instid0(VALU_DEP_2)
	v_dual_add_f32 v23, v10, v18 :: v_dual_fmamk_f32 v22, v9, 0xbf5db3d7, v15
	v_fmac_f32_e32 v15, 0x3f5db3d7, v9
	v_add_f32_e32 v9, v16, v19
	v_fmac_f32_e32 v17, v115, v72
	v_fma_f32 v72, v12, v83, -v13
	v_add_f32_e32 v11, v20, v16
	v_add_f32_e32 v12, v137, v68
	v_fmac_f32_e32 v20, -0.5, v9
	v_add_f32_e32 v10, v68, v17
	v_sub_f32_e32 v9, v68, v17
	v_dual_mul_f32 v75, v114, v87 :: v_dual_fmamk_f32 v60, v8, 0x3f5db3d7, v61
	v_fmac_f32_e32 v61, 0xbf5db3d7, v8
	s_delay_alu instid0(VALU_DEP_4) | instskip(NEXT) | instid1(VALU_DEP_4)
	v_dual_fmac_f32 v137, -0.5, v10 :: v_dual_sub_f32 v10, v16, v19
	v_fmamk_f32 v8, v9, 0x3f5db3d7, v20
	v_fmac_f32_e32 v20, 0xbf5db3d7, v9
	v_dual_add_f32 v16, v12, v17 :: v_dual_fmac_f32 v75, v113, v86
	s_delay_alu instid0(VALU_DEP_3) | instskip(SKIP_1) | instid1(VALU_DEP_4)
	v_mul_f32_e32 v68, 0.5, v8
	v_mul_f32_e32 v17, 0xbf5db3d7, v8
	v_mul_f32_e32 v18, 0xbf5db3d7, v20
	s_delay_alu instid0(VALU_DEP_4) | instskip(SKIP_3) | instid1(VALU_DEP_1)
	v_add_f32_e32 v8, v14, v16
	v_sub_f32_e32 v14, v14, v16
	v_fmamk_f32 v9, v10, 0xbf5db3d7, v137
	v_dual_fmac_f32 v137, 0x3f5db3d7, v10 :: v_dual_mul_f32 v20, -0.5, v20
	v_fmac_f32_e32 v18, -0.5, v137
	s_delay_alu instid0(VALU_DEP_2) | instskip(NEXT) | instid1(VALU_DEP_2)
	v_fmac_f32_e32 v20, 0x3f5db3d7, v137
	v_add_f32_e32 v12, v15, v18
	v_dual_sub_f32 v18, v15, v18 :: v_dual_fmac_f32 v17, 0.5, v9
	v_fmac_f32_e32 v68, 0x3f5db3d7, v9
	s_delay_alu instid0(VALU_DEP_2) | instskip(SKIP_1) | instid1(VALU_DEP_2)
	v_dual_add_f32 v10, v22, v17 :: v_dual_add_f32 v19, v11, v19
	v_sub_f32_e32 v16, v22, v17
	v_dual_add_f32 v22, v69, v78 :: v_dual_add_f32 v9, v23, v19
	v_sub_f32_e32 v15, v23, v19
	v_add_f32_e32 v23, v66, v69
	s_delay_alu instid0(VALU_DEP_3) | instskip(SKIP_2) | instid1(VALU_DEP_4)
	v_fma_f32 v66, -0.5, v22, v66
	v_dual_sub_f32 v22, v77, v70 :: v_dual_add_f32 v11, v60, v68
	v_sub_f32_e32 v19, v61, v20
	v_add_f32_e32 v79, v23, v78
	v_add_f32_e32 v23, v67, v77
	;; [unrolled: 1-line block ×3, first 2 shown]
	v_dual_add_f32 v20, v77, v70 :: v_dual_add_f32 v61, v76, v73
	v_fmamk_f32 v77, v22, 0xbf5db3d7, v66
	v_fmac_f32_e32 v66, 0x3f5db3d7, v22
	v_dual_add_f32 v22, v74, v71 :: v_dual_sub_f32 v17, v60, v68
	v_add_f32_e32 v60, v72, v74
	s_delay_alu instid0(VALU_DEP_2) | instskip(SKIP_2) | instid1(VALU_DEP_1)
	v_fmac_f32_e32 v72, -0.5, v22
	v_dual_sub_f32 v22, v73, v75 :: v_dual_fmac_f32 v67, -0.5, v20
	v_sub_f32_e32 v20, v69, v78
	v_fmamk_f32 v80, v20, 0x3f5db3d7, v67
	v_fmac_f32_e32 v67, 0xbf5db3d7, v20
	s_delay_alu instid0(VALU_DEP_4) | instskip(SKIP_2) | instid1(VALU_DEP_3)
	v_fmamk_f32 v20, v22, 0x3f5db3d7, v72
	v_add_f32_e32 v78, v23, v70
	v_dual_fmac_f32 v72, 0xbf5db3d7, v22 :: v_dual_add_f32 v23, v73, v75
	v_dual_add_f32 v70, v61, v75 :: v_dual_mul_f32 v73, 0xbf5db3d7, v20
	v_mul_f32_e32 v20, 0.5, v20
	s_delay_alu instid0(VALU_DEP_3) | instskip(NEXT) | instid1(VALU_DEP_4)
	v_fmac_f32_e32 v76, -0.5, v23
	v_dual_sub_f32 v23, v74, v71 :: v_dual_mul_f32 v74, 0xbf5db3d7, v72
	s_delay_alu instid0(VALU_DEP_4) | instskip(SKIP_1) | instid1(VALU_DEP_3)
	v_add_f32_e32 v22, v79, v70
	v_sub_f32_e32 v70, v79, v70
	v_fmamk_f32 v61, v23, 0xbf5db3d7, v76
	v_fmac_f32_e32 v76, 0x3f5db3d7, v23
	s_delay_alu instid0(VALU_DEP_1) | instskip(NEXT) | instid1(VALU_DEP_1)
	v_dual_add_f32 v71, v60, v71 :: v_dual_fmac_f32 v74, -0.5, v76
	v_add_f32_e32 v23, v78, v71
	v_sub_f32_e32 v71, v78, v71
	s_delay_alu instid0(VALU_DEP_3) | instskip(SKIP_1) | instid1(VALU_DEP_2)
	v_dual_add_f32 v68, v66, v74 :: v_dual_fmac_f32 v73, 0.5, v61
	v_sub_f32_e32 v66, v66, v74
	v_dual_add_f32 v60, v77, v73 :: v_dual_mul_f32 v75, -0.5, v72
	v_fmac_f32_e32 v20, 0x3f5db3d7, v61
	s_delay_alu instid0(VALU_DEP_2) | instskip(NEXT) | instid1(VALU_DEP_2)
	v_dual_sub_f32 v72, v77, v73 :: v_dual_fmac_f32 v75, 0x3f5db3d7, v76
	v_add_f32_e32 v61, v80, v20
	v_sub_f32_e32 v73, v80, v20
	s_delay_alu instid0(VALU_DEP_3)
	v_add_f32_e32 v69, v67, v75
	v_sub_f32_e32 v67, v67, v75
	ds_store_2addr_b64 v150, v[8:9], v[10:11] offset1:10
	ds_store_2addr_b64 v150, v[12:13], v[14:15] offset0:20 offset1:30
	ds_store_2addr_b64 v150, v[16:17], v[18:19] offset0:40 offset1:50
	ds_store_2addr_b64 v149, v[22:23], v[60:61] offset1:10
	ds_store_2addr_b64 v149, v[68:69], v[70:71] offset0:20 offset1:30
	ds_store_2addr_b64 v149, v[72:73], v[66:67] offset0:40 offset1:50
	s_and_saveexec_b32 s1, s0
	s_cbranch_execz .LBB0_21
; %bb.20:
	v_mul_f32_e32 v8, v7, v56
	v_dual_mul_f32 v9, v3, v62 :: v_dual_mul_f32 v10, v1, v59
	v_mul_f32_e32 v1, v1, v58
	v_mul_f32_e32 v11, v112, v64
	s_delay_alu instid0(VALU_DEP_4) | instskip(NEXT) | instid1(VALU_DEP_4)
	v_fma_f32 v8, v6, v57, -v8
	v_fma_f32 v9, v2, v63, -v9
	v_dual_mul_f32 v12, v112, v65 :: v_dual_mul_f32 v13, v5, v26
	v_fma_f32 v14, v0, v59, -v1
	v_fma_f32 v11, v111, v65, -v11
	s_delay_alu instid0(VALU_DEP_4) | instskip(NEXT) | instid1(VALU_DEP_4)
	v_dual_add_f32 v1, v9, v8 :: v_dual_fmac_f32 v10, v0, v58
	v_dual_mul_f32 v5, v5, v27 :: v_dual_fmac_f32 v12, v111, v64
	v_fma_f32 v0, v4, v27, -v13
	s_delay_alu instid0(VALU_DEP_4) | instskip(NEXT) | instid1(VALU_DEP_4)
	v_add_f32_e32 v13, v14, v11
	v_fma_f32 v16, -0.5, v1, v25
	s_delay_alu instid0(VALU_DEP_4)
	v_fmac_f32_e32 v5, v4, v26
	v_add_f32_e32 v20, v8, v25
	v_sub_f32_e32 v8, v8, v9
	v_fma_f32 v4, -0.5, v13, v0
	v_sub_f32_e32 v13, v10, v12
	v_mul_f32_e32 v15, v3, v63
	v_add_f32_e32 v3, v10, v12
	v_add_f32_e32 v0, v14, v0
	s_delay_alu instid0(VALU_DEP_3) | instskip(NEXT) | instid1(VALU_DEP_3)
	v_fmac_f32_e32 v15, v2, v62
	v_fma_f32 v2, -0.5, v3, v5
	v_sub_f32_e32 v3, v14, v11
	v_dual_mul_f32 v7, v7, v57 :: v_dual_add_f32 v14, v9, v20
	s_delay_alu instid0(VALU_DEP_1) | instskip(SKIP_1) | instid1(VALU_DEP_2)
	v_dual_fmac_f32 v7, v6, v56 :: v_dual_fmamk_f32 v6, v13, 0xbf5db3d7, v4
	v_fmac_f32_e32 v4, 0x3f5db3d7, v13
	v_dual_add_f32 v22, v15, v7 :: v_dual_mul_f32 v17, -0.5, v6
	v_mul_f32_e32 v6, 0xbf5db3d7, v6
	v_fmamk_f32 v13, v3, 0x3f5db3d7, v2
	v_fmac_f32_e32 v2, 0xbf5db3d7, v3
	v_mul_f32_e32 v18, 0.5, v4
	v_fma_f32 v20, -0.5, v22, v24
	s_delay_alu instid0(VALU_DEP_4) | instskip(NEXT) | instid1(VALU_DEP_3)
	v_dual_sub_f32 v1, v7, v15 :: v_dual_fmac_f32 v6, -0.5, v13
	v_fmac_f32_e32 v18, 0x3f5db3d7, v2
	s_delay_alu instid0(VALU_DEP_3) | instskip(NEXT) | instid1(VALU_DEP_3)
	v_fmamk_f32 v22, v8, 0x3f5db3d7, v20
	v_fmamk_f32 v19, v1, 0xbf5db3d7, v16
	v_fmac_f32_e32 v16, 0x3f5db3d7, v1
	v_dual_add_f32 v5, v10, v5 :: v_dual_fmac_f32 v20, 0xbf5db3d7, v8
	v_add_f32_e32 v11, v11, v0
	v_dual_add_f32 v0, v7, v24 :: v_dual_fmac_f32 v17, 0x3f5db3d7, v13
	s_delay_alu instid0(VALU_DEP_4) | instskip(NEXT) | instid1(VALU_DEP_4)
	v_sub_f32_e32 v3, v16, v18
	v_dual_mul_f32 v13, 0xbf5db3d7, v4 :: v_dual_add_f32 v12, v12, v5
	s_delay_alu instid0(VALU_DEP_3) | instskip(NEXT) | instid1(VALU_DEP_4)
	v_add_f32_e32 v10, v15, v0
	v_dual_sub_f32 v1, v19, v17 :: v_dual_sub_f32 v0, v22, v6
	v_sub_f32_e32 v5, v14, v11
	v_add_f32_e32 v6, v22, v6
	s_delay_alu instid0(VALU_DEP_4) | instskip(SKIP_2) | instid1(VALU_DEP_3)
	v_dual_fmac_f32 v13, 0.5, v2 :: v_dual_sub_f32 v4, v10, v12
	v_dual_add_f32 v7, v19, v17 :: v_dual_and_b32 v2, 0xffff, v152
	v_dual_add_f32 v10, v10, v12 :: v_dual_add_f32 v9, v16, v18
	v_dual_add_f32 v11, v14, v11 :: v_dual_add_f32 v8, v20, v13
	s_delay_alu instid0(VALU_DEP_3)
	v_add_lshl_u32 v12, v146, v2, 3
	v_sub_f32_e32 v2, v20, v13
	ds_store_2addr_b64 v12, v[10:11], v[8:9] offset1:10
	ds_store_2addr_b64 v12, v[6:7], v[4:5] offset0:20 offset1:30
	ds_store_2addr_b64 v12, v[2:3], v[0:1] offset0:40 offset1:50
.LBB0_21:
	s_wait_alu 0xfffe
	s_or_b32 exec_lo, exec_lo, s1
	global_wb scope:SCOPE_SE
	s_wait_dscnt 0x0
	s_barrier_signal -1
	s_barrier_wait -1
	global_inv scope:SCOPE_SE
	ds_load_2addr_b64 v[4:7], v144 offset0:120 offset1:240
	v_add_nc_u32_e32 v1, 0x800, v144
	v_add_nc_u32_e32 v2, 0x1000, v144
	;; [unrolled: 1-line block ×3, first 2 shown]
	s_mov_b32 s2, 0x11111111
	s_mov_b32 s3, 0x3f411111
	s_mul_u64 s[8:9], s[4:5], 0xc00
	s_wait_dscnt 0x0
	v_mul_f32_e32 v68, v55, v7
	v_mul_f32_e32 v55, v55, v6
	ds_load_2addr_b64 v[8:11], v1 offset0:104 offset1:224
	v_mul_f32_e32 v67, v53, v5
	v_mul_f32_e32 v53, v53, v4
	v_dual_fmac_f32 v68, v54, v6 :: v_dual_add_nc_u32 v3, 0x2000, v144
	v_add_nc_u32_e32 v20, 0x2800, v144
	s_delay_alu instid0(VALU_DEP_4) | instskip(NEXT) | instid1(VALU_DEP_4)
	v_fmac_f32_e32 v67, v52, v4
	v_fma_f32 v4, v52, v5, -v53
	v_add_nc_u32_e32 v66, 0x3000, v144
	v_fma_f32 v7, v54, v7, -v55
	s_wait_dscnt 0x0
	v_mul_f32_e32 v5, v45, v9
	ds_load_2addr_b64 v[12:15], v2 offset0:88 offset1:208
	ds_load_b64 v[26:27], v145
	ds_load_b64 v[64:65], v144 offset:14400
	ds_load_2addr_b64 v[16:19], v0 offset0:72 offset1:192
	ds_load_2addr_b64 v[22:25], v3 offset0:56 offset1:176
	;; [unrolled: 1-line block ×3, first 2 shown]
	v_dual_mul_f32 v6, v45, v8 :: v_dual_mul_f32 v45, v47, v11
	ds_load_2addr_b64 v[60:63], v66 offset0:24 offset1:144
	v_dual_fmac_f32 v5, v44, v8 :: v_dual_mul_f32 v8, v47, v10
	global_wb scope:SCOPE_SE
	s_wait_dscnt 0x0
	v_fmac_f32_e32 v45, v46, v10
	v_fma_f32 v6, v44, v9, -v6
	s_barrier_signal -1
	v_fma_f32 v8, v46, v11, -v8
	s_barrier_wait -1
	global_inv scope:SCOPE_SE
	v_dual_mul_f32 v10, v39, v15 :: v_dual_mul_f32 v9, v37, v13
	s_delay_alu instid0(VALU_DEP_1) | instskip(NEXT) | instid1(VALU_DEP_2)
	v_dual_mul_f32 v37, v37, v12 :: v_dual_fmac_f32 v10, v38, v14
	v_fmac_f32_e32 v9, v36, v12
	s_delay_alu instid0(VALU_DEP_2) | instskip(SKIP_2) | instid1(VALU_DEP_2)
	v_fma_f32 v11, v36, v13, -v37
	v_dual_mul_f32 v12, v39, v14 :: v_dual_mul_f32 v13, v29, v17
	v_dual_mul_f32 v14, v29, v16 :: v_dual_mul_f32 v29, v31, v19
	v_fma_f32 v12, v38, v15, -v12
	v_mul_f32_e32 v15, v31, v18
	s_delay_alu instid0(VALU_DEP_4) | instskip(NEXT) | instid1(VALU_DEP_4)
	v_fmac_f32_e32 v13, v28, v16
	v_dual_fmac_f32 v29, v30, v18 :: v_dual_mul_f32 v18, v51, v25
	v_fma_f32 v14, v28, v17, -v14
	v_mul_f32_e32 v16, v49, v23
	v_mul_f32_e32 v28, v33, v61
	s_delay_alu instid0(VALU_DEP_4) | instskip(SKIP_1) | instid1(VALU_DEP_4)
	v_dual_mul_f32 v17, v49, v22 :: v_dual_fmac_f32 v18, v50, v24
	v_fma_f32 v15, v30, v19, -v15
	v_dual_mul_f32 v19, v51, v24 :: v_dual_fmac_f32 v16, v48, v22
	v_mul_f32_e32 v22, v41, v57
	v_mul_f32_e32 v24, v43, v59
	;; [unrolled: 1-line block ×3, first 2 shown]
	s_delay_alu instid0(VALU_DEP_4)
	v_fma_f32 v19, v50, v25, -v19
	v_dual_mul_f32 v25, v43, v58 :: v_dual_fmac_f32 v28, v32, v60
	v_mul_f32_e32 v31, v35, v63
	v_dual_mul_f32 v33, v35, v62 :: v_dual_fmac_f32 v22, v40, v56
	v_fma_f32 v17, v48, v23, -v17
	v_dual_mul_f32 v23, v41, v56 :: v_dual_fmac_f32 v24, v42, v58
	v_fma_f32 v25, v42, v59, -v25
	v_fma_f32 v30, v32, v61, -v30
	v_mul_f32_e32 v32, v118, v65
	v_fmac_f32_e32 v31, v34, v62
	v_fma_f32 v33, v34, v63, -v33
	v_dual_mul_f32 v35, v118, v64 :: v_dual_sub_f32 v18, v68, v18
	v_dual_sub_f32 v29, v26, v29 :: v_dual_sub_f32 v24, v45, v24
	v_dual_fmac_f32 v32, v117, v64 :: v_dual_sub_f32 v15, v27, v15
	v_dual_sub_f32 v28, v9, v28 :: v_dual_sub_f32 v25, v8, v25
	v_sub_f32_e32 v16, v67, v16
	v_dual_sub_f32 v19, v7, v19 :: v_dual_sub_f32 v22, v5, v22
	v_dual_sub_f32 v31, v10, v31 :: v_dual_sub_f32 v30, v11, v30
	;; [unrolled: 1-line block ×3, first 2 shown]
	v_fma_f32 v23, v40, v57, -v23
	v_fma_f32 v34, v117, v65, -v35
	v_fma_f32 v26, v26, 2.0, -v29
	v_fma_f32 v27, v27, 2.0, -v15
	;; [unrolled: 1-line block ×6, first 2 shown]
	v_dual_sub_f32 v17, v4, v17 :: v_dual_sub_f32 v34, v14, v34
	v_fma_f32 v10, v10, 2.0, -v31
	v_fma_f32 v12, v12, 2.0, -v33
	;; [unrolled: 1-line block ×3, first 2 shown]
	s_delay_alu instid0(VALU_DEP_4)
	v_fma_f32 v4, v4, 2.0, -v17
	v_fma_f32 v9, v9, 2.0, -v28
	v_dual_sub_f32 v23, v6, v23 :: v_dual_sub_f32 v8, v27, v8
	v_fma_f32 v11, v11, 2.0, -v30
	v_fma_f32 v5, v5, 2.0, -v22
	;; [unrolled: 1-line block ×3, first 2 shown]
	v_dual_sub_f32 v35, v26, v35 :: v_dual_sub_f32 v24, v15, v24
	v_dual_add_f32 v25, v29, v25 :: v_dual_sub_f32 v10, v36, v10
	v_dual_sub_f32 v12, v7, v12 :: v_dual_add_f32 v33, v18, v33
	v_dual_sub_f32 v31, v19, v31 :: v_dual_add_f32 v30, v16, v30
	v_fma_f32 v6, v6, 2.0, -v23
	v_fma_f32 v14, v14, 2.0, -v34
	;; [unrolled: 1-line block ×7, first 2 shown]
	v_dual_sub_f32 v9, v37, v9 :: v_dual_sub_f32 v14, v6, v14
	v_fma_f32 v7, v7, 2.0, -v12
	v_fma_f32 v18, v18, 2.0, -v33
	v_dual_sub_f32 v11, v4, v11 :: v_dual_sub_f32 v28, v17, v28
	v_fma_f32 v19, v19, 2.0, -v31
	v_dual_sub_f32 v13, v5, v13 :: v_dual_add_f32 v34, v22, v34
	v_dual_sub_f32 v32, v23, v32 :: v_dual_fmamk_f32 v41, v33, 0x3f3504f3, v25
	v_fma_f32 v37, v37, 2.0, -v9
	v_fma_f32 v16, v16, 2.0, -v30
	;; [unrolled: 1-line block ×4, first 2 shown]
	v_dual_fmamk_f32 v38, v18, 0xbf3504f3, v29 :: v_dual_sub_f32 v39, v27, v7
	v_fma_f32 v22, v22, 2.0, -v34
	v_dual_sub_f32 v36, v26, v36 :: v_dual_sub_f32 v43, v8, v10
	v_fmamk_f32 v40, v19, 0xbf3504f3, v15
	v_fma_f32 v7, v23, 2.0, -v32
	v_dual_add_f32 v42, v35, v12 :: v_dual_fmac_f32 v41, 0x3f3504f3, v31
	v_fma_f32 v4, v4, 2.0, -v11
	v_fma_f32 v6, v6, 2.0, -v14
	v_fmac_f32_e32 v38, 0x3f3504f3, v19
	v_fma_f32 v19, v26, 2.0, -v36
	v_fmac_f32_e32 v40, 0xbf3504f3, v18
	v_fmamk_f32 v44, v31, 0x3f3504f3, v24
	v_fma_f32 v26, v35, 2.0, -v42
	v_sub_f32_e32 v31, v37, v5
	v_fmamk_f32 v35, v7, 0xbf3504f3, v17
	v_fma_f32 v18, v29, 2.0, -v38
	v_fmac_f32_e32 v44, 0xbf3504f3, v33
	v_fmamk_f32 v29, v22, 0xbf3504f3, v16
	v_sub_f32_e32 v33, v4, v6
	v_fmac_f32_e32 v35, 0xbf3504f3, v22
	v_fma_f32 v5, v37, 2.0, -v31
	v_fmamk_f32 v37, v34, 0x3f3504f3, v30
	v_fma_f32 v15, v15, 2.0, -v40
	v_dual_fmac_f32 v29, 0x3f3504f3, v7 :: v_dual_add_f32 v46, v9, v14
	v_fma_f32 v6, v4, 2.0, -v33
	v_dual_sub_f32 v47, v11, v13 :: v_dual_fmamk_f32 v48, v32, 0x3f3504f3, v28
	v_fma_f32 v10, v17, 2.0, -v35
	v_dual_sub_f32 v4, v19, v5 :: v_dual_fmac_f32 v37, 0x3f3504f3, v32
	v_fma_f32 v23, v27, 2.0, -v39
	v_fma_f32 v27, v8, 2.0, -v43
	;; [unrolled: 1-line block ×5, first 2 shown]
	v_fmac_f32_e32 v48, 0xbf3504f3, v34
	v_fma_f32 v22, v30, 2.0, -v37
	v_fmamk_f32 v7, v10, 0xbf6c835e, v15
	v_dual_sub_f32 v5, v23, v6 :: v_dual_fmamk_f32 v6, v12, 0xbf6c835e, v18
	v_fmamk_f32 v11, v16, 0xbf3504f3, v27
	v_fma_f32 v17, v28, 2.0, -v48
	s_delay_alu instid0(VALU_DEP_4)
	v_fmac_f32_e32 v7, 0xbec3ef15, v12
	v_fmamk_f32 v12, v22, 0xbec3ef15, v25
	v_fma_f32 v45, v24, 2.0, -v44
	v_fma_f32 v13, v9, 2.0, -v46
	v_fmac_f32_e32 v6, 0x3ec3ef15, v10
	v_fma_f32 v9, v23, 2.0, -v5
	v_dual_sub_f32 v23, v39, v31 :: v_dual_fmac_f32 v12, 0x3f6c835e, v17
	s_delay_alu instid0(VALU_DEP_4) | instskip(NEXT) | instid1(VALU_DEP_4)
	v_dual_fmamk_f32 v10, v13, 0xbf3504f3, v26 :: v_dual_fmac_f32 v11, 0xbf3504f3, v13
	v_fma_f32 v14, v18, 2.0, -v6
	v_fmamk_f32 v13, v17, 0xbec3ef15, v45
	s_delay_alu instid0(VALU_DEP_4) | instskip(SKIP_4) | instid1(VALU_DEP_4)
	v_fma_f32 v18, v25, 2.0, -v12
	v_fmamk_f32 v25, v35, 0x3ec3ef15, v40
	v_fmamk_f32 v24, v29, 0x3ec3ef15, v38
	v_fmac_f32_e32 v10, 0x3f3504f3, v16
	v_dual_fmac_f32 v13, 0xbf6c835e, v22 :: v_dual_add_f32 v22, v36, v33
	v_fmac_f32_e32 v25, 0xbf6c835e, v29
	v_dual_fmamk_f32 v28, v46, 0x3f3504f3, v42 :: v_dual_fmamk_f32 v29, v47, 0x3f3504f3, v43
	v_dual_fmamk_f32 v30, v37, 0x3f6c835e, v41 :: v_dual_fmamk_f32 v31, v48, 0x3f6c835e, v44
	v_fmac_f32_e32 v24, 0x3f6c835e, v35
	v_fma_f32 v8, v19, 2.0, -v4
	v_fma_f32 v15, v15, 2.0, -v7
	v_fmac_f32_e32 v28, 0x3f3504f3, v47
	v_fmac_f32_e32 v29, 0xbf3504f3, v46
	;; [unrolled: 1-line block ×4, first 2 shown]
	v_fma_f32 v16, v26, 2.0, -v10
	v_fma_f32 v17, v27, 2.0, -v11
	;; [unrolled: 1-line block ×7, first 2 shown]
	v_add_nc_u32_e32 v38, 0x400, v151
	v_fma_f32 v34, v42, 2.0, -v28
	v_fma_f32 v35, v43, 2.0, -v29
	;; [unrolled: 1-line block ×4, first 2 shown]
	ds_store_2addr_b64 v151, v[8:9], v[14:15] offset1:60
	ds_store_2addr_b64 v151, v[16:17], v[18:19] offset0:120 offset1:180
	ds_store_2addr_b64 v38, v[26:27], v[32:33] offset0:112 offset1:172
	v_add_nc_u32_e32 v8, 0x800, v151
	v_add_nc_u32_e32 v9, 0xc00, v151
	;; [unrolled: 1-line block ×5, first 2 shown]
	ds_store_2addr_b64 v8, v[34:35], v[36:37] offset0:104 offset1:164
	ds_store_2addr_b64 v9, v[4:5], v[6:7] offset0:96 offset1:156
	;; [unrolled: 1-line block ×5, first 2 shown]
	global_wb scope:SCOPE_SE
	s_wait_dscnt 0x0
	s_barrier_signal -1
	s_barrier_wait -1
	global_inv scope:SCOPE_SE
	ds_load_2addr_b64 v[4:7], v0 offset0:72 offset1:192
	ds_load_2addr_b64 v[8:11], v3 offset0:56 offset1:176
	;; [unrolled: 1-line block ×7, first 2 shown]
	ds_load_b64 v[34:35], v145
	ds_load_b64 v[36:37], v144 offset:14400
	s_wait_dscnt 0x8
	v_mul_f32_e32 v20, v134, v7
	s_wait_dscnt 0x7
	v_dual_mul_f32 v38, v134, v6 :: v_dual_mul_f32 v39, v128, v9
	s_wait_dscnt 0x6
	v_dual_mul_f32 v40, v132, v10 :: v_dual_mul_f32 v41, v122, v13
	v_fmac_f32_e32 v20, v133, v6
	v_mul_f32_e32 v6, v128, v8
	v_fma_f32 v7, v133, v7, -v38
	v_dual_mul_f32 v38, v132, v11 :: v_dual_fmac_f32 v39, v127, v8
	v_mul_f32_e32 v8, v124, v14
	s_delay_alu instid0(VALU_DEP_4) | instskip(SKIP_1) | instid1(VALU_DEP_4)
	v_fma_f32 v9, v127, v9, -v6
	v_mul_f32_e32 v6, v122, v12
	v_fmac_f32_e32 v38, v131, v10
	s_wait_dscnt 0x0
	v_mul_f32_e32 v10, v126, v36
	v_fma_f32 v40, v131, v11, -v40
	v_mul_f32_e32 v48, v126, v37
	v_fma_f32 v44, v121, v13, -v6
	v_mul_f32_e32 v6, v130, v26
	v_fma_f32 v37, v125, v37, -v10
	v_mul_f32_e32 v42, v124, v15
	v_mul_f32_e32 v43, v130, v27
	v_fma_f32 v45, v123, v15, -v8
	v_dual_mul_f32 v46, v120, v29 :: v_dual_sub_f32 v7, v35, v7
	v_fma_f32 v47, v129, v27, -v6
	v_mul_f32_e32 v8, v120, v28
	v_dual_fmac_f32 v41, v121, v12 :: v_dual_sub_f32 v10, v16, v39
	v_dual_sub_f32 v11, v17, v9 :: v_dual_sub_f32 v12, v18, v38
	v_sub_f32_e32 v13, v19, v40
	v_dual_sub_f32 v37, v5, v37 :: v_dual_fmac_f32 v42, v123, v14
	v_dual_fmac_f32 v43, v129, v26 :: v_dual_fmac_f32 v46, v119, v28
	v_sub_f32_e32 v6, v34, v20
	v_fma_f32 v20, v119, v29, -v8
	v_fmac_f32_e32 v48, v125, v36
	v_fma_f32 v14, v16, 2.0, -v10
	v_fma_f32 v15, v17, 2.0, -v11
	;; [unrolled: 1-line block ×3, first 2 shown]
	v_sub_f32_e32 v18, v22, v41
	v_fma_f32 v17, v19, 2.0, -v13
	v_dual_sub_f32 v19, v23, v44 :: v_dual_sub_f32 v26, v24, v42
	v_sub_f32_e32 v27, v25, v45
	v_fma_f32 v8, v34, 2.0, -v6
	v_fma_f32 v9, v35, 2.0, -v7
	v_sub_f32_e32 v28, v30, v43
	v_dual_sub_f32 v29, v31, v47 :: v_dual_sub_f32 v34, v32, v46
	v_sub_f32_e32 v35, v33, v20
	v_sub_f32_e32 v36, v4, v48
	v_fma_f32 v22, v22, 2.0, -v18
	v_fma_f32 v23, v23, 2.0, -v19
	;; [unrolled: 1-line block ×4, first 2 shown]
	v_add_nc_u32_e32 v20, 0x2900, v144
	v_fma_f32 v30, v30, 2.0, -v28
	v_fma_f32 v31, v31, 2.0, -v29
	;; [unrolled: 1-line block ×6, first 2 shown]
	ds_store_b64 v145, v[8:9]
	ds_store_2addr_b64 v144, v[14:15], v[16:17] offset0:120 offset1:240
	ds_store_2addr_b64 v3, v[10:11], v[12:13] offset0:56 offset1:176
	;; [unrolled: 1-line block ×6, first 2 shown]
	ds_store_b64 v135, v[26:27] offset:7680
	ds_store_b64 v136, v[34:35] offset:7680
	;; [unrolled: 1-line block ×3, first 2 shown]
	global_wb scope:SCOPE_SE
	s_wait_dscnt 0x0
	s_barrier_signal -1
	s_barrier_wait -1
	global_inv scope:SCOPE_SE
	ds_load_b64 v[0:1], v145
	ds_load_b64 v[12:13], v144 offset:13824
	v_mad_co_u64_u32 v[20:21], null, s6, v90, 0
	v_mad_co_u64_u32 v[24:25], null, s4, v141, 0
	s_wait_dscnt 0x1
	v_mul_f32_e32 v2, v100, v1
	v_mul_f32_e32 v3, v100, v0
	s_wait_dscnt 0x0
	v_mul_f32_e32 v42, v104, v13
	v_mul_f32_e32 v43, v104, v12
	v_fmac_f32_e32 v2, v99, v0
	v_fma_f32 v0, v99, v1, -v3
	s_delay_alu instid0(VALU_DEP_4) | instskip(NEXT) | instid1(VALU_DEP_4)
	v_fmac_f32_e32 v42, v103, v12
	v_fma_f32 v43, v103, v13, -v43
	s_delay_alu instid0(VALU_DEP_4) | instskip(NEXT) | instid1(VALU_DEP_4)
	v_cvt_f64_f32_e32 v[4:5], v2
	v_cvt_f64_f32_e32 v[6:7], v0
	ds_load_2addr_stride64_b64 v[0:3], v144 offset0:3 offset1:6
	s_wait_dscnt 0x0
	v_mul_f32_e32 v14, v98, v1
	v_dual_mul_f32 v15, v98, v0 :: v_dual_mul_f32 v18, v96, v3
	s_delay_alu instid0(VALU_DEP_2) | instskip(NEXT) | instid1(VALU_DEP_2)
	v_fmac_f32_e32 v14, v97, v0
	v_fma_f32 v0, v97, v1, -v15
	v_mul_f32_e32 v1, v96, v2
	s_delay_alu instid0(VALU_DEP_4) | instskip(NEXT) | instid1(VALU_DEP_4)
	v_fmac_f32_e32 v18, v95, v2
	v_cvt_f64_f32_e32 v[14:15], v14
	s_delay_alu instid0(VALU_DEP_4) | instskip(NEXT) | instid1(VALU_DEP_4)
	v_cvt_f64_f32_e32 v[16:17], v0
	v_fma_f32 v0, v95, v3, -v1
	s_delay_alu instid0(VALU_DEP_4)
	v_cvt_f64_f32_e32 v[18:19], v18
	s_wait_alu 0xfffe
	v_mul_f64_e32 v[8:9], s[2:3], v[4:5]
	v_mul_f64_e32 v[10:11], s[2:3], v[6:7]
	v_cvt_f64_f32_e32 v[22:23], v0
	v_mov_b32_e32 v4, v21
	ds_load_2addr_stride64_b64 v[0:3], v144 offset0:9 offset1:12
	v_mad_co_u64_u32 v[4:5], null, s7, v90, v[4:5]
	v_mov_b32_e32 v5, v25
	s_mul_u64 s[6:7], s[4:5], 0xc0
	s_wait_alu 0xfffe
	s_lshl_b64 s[6:7], s[6:7], 3
	s_delay_alu instid0(VALU_DEP_1) | instskip(NEXT) | instid1(VALU_DEP_3)
	v_mad_co_u64_u32 v[25:26], null, s5, v141, v[5:6]
	v_mov_b32_e32 v21, v4
	ds_load_2addr_stride64_b64 v[4:7], v144 offset0:15 offset1:18
	v_lshlrev_b64_e32 v[20:21], 3, v[20:21]
	s_wait_dscnt 0x1
	v_mul_f32_e32 v28, v110, v1
	v_mul_f32_e32 v30, v92, v3
	;; [unrolled: 1-line block ×3, first 2 shown]
	s_delay_alu instid0(VALU_DEP_4) | instskip(NEXT) | instid1(VALU_DEP_4)
	v_add_co_u32 v44, s0, s10, v20
	v_fmac_f32_e32 v28, v109, v0
	v_mul_f32_e32 v0, v110, v0
	v_mul_f64_e32 v[14:15], s[2:3], v[14:15]
	v_mul_f64_e32 v[16:17], s[2:3], v[16:17]
	v_fmac_f32_e32 v30, v91, v2
	v_mul_f64_e32 v[18:19], s[2:3], v[18:19]
	v_fma_f32 v0, v109, v1, -v0
	v_fma_f32 v31, v91, v3, -v31
	v_cvt_f32_f64_e32 v26, v[8:9]
	v_cvt_f32_f64_e32 v27, v[10:11]
	ds_load_2addr_stride64_b64 v[8:11], v144 offset0:21 offset1:24
	v_mul_f64_e32 v[22:23], s[2:3], v[22:23]
	v_cvt_f64_f32_e32 v[0:1], v0
	v_cvt_f64_f32_e32 v[2:3], v30
	s_wait_dscnt 0x1
	v_mul_f32_e32 v32, v108, v5
	v_dual_mul_f32 v33, v108, v4 :: v_dual_mul_f32 v34, v106, v7
	v_mul_f32_e32 v35, v106, v6
	v_cvt_f64_f32_e32 v[28:29], v28
	s_delay_alu instid0(VALU_DEP_4) | instskip(NEXT) | instid1(VALU_DEP_4)
	v_fmac_f32_e32 v32, v107, v4
	v_fma_f32 v33, v107, v5, -v33
	v_fmac_f32_e32 v34, v105, v6
	v_fma_f32 v36, v105, v7, -v35
	v_cvt_f64_f32_e32 v[30:31], v31
	v_cvt_f64_f32_e32 v[4:5], v32
	;; [unrolled: 1-line block ×5, first 2 shown]
	v_mad_co_u64_u32 v[6:7], null, s4, v139, 0
	s_wait_dscnt 0x0
	v_mul_f32_e32 v38, v102, v9
	v_mul_f32_e32 v40, v94, v11
	v_mul_f32_e32 v41, v94, v10
	s_wait_alu 0xf1ff
	v_add_co_ci_u32_e64 v45, s0, s11, v21, s0
	v_fmac_f32_e32 v38, v101, v8
	v_mul_f32_e32 v8, v102, v8
	v_fmac_f32_e32 v40, v93, v10
	v_fma_f32 v41, v93, v11, -v41
	v_lshlrev_b64_e32 v[20:21], 3, v[24:25]
	v_cvt_f32_f64_e32 v14, v[14:15]
	v_fma_f32 v8, v101, v9, -v8
	v_cvt_f32_f64_e32 v15, v[16:17]
	v_cvt_f32_f64_e32 v16, v[18:19]
	v_cvt_f64_f32_e32 v[38:39], v38
	v_cvt_f64_f32_e32 v[10:11], v40
	;; [unrolled: 1-line block ×5, first 2 shown]
	v_cvt_f32_f64_e32 v17, v[22:23]
	v_mul_f64_e32 v[0:1], s[2:3], v[0:1]
	v_mul_f64_e32 v[2:3], s[2:3], v[2:3]
	v_cvt_f64_f32_e32 v[42:43], v43
	v_add_co_u32 v20, s0, v44, v20
	s_wait_alu 0xf1ff
	v_add_co_ci_u32_e64 v21, s0, v45, v21, s0
	v_mul_f64_e32 v[18:19], s[2:3], v[28:29]
	v_mul_f64_e32 v[4:5], s[2:3], v[4:5]
	;; [unrolled: 1-line block ×3, first 2 shown]
	s_wait_alu 0xfffe
	v_add_co_u32 v32, s0, v20, s6
	s_wait_alu 0xf1ff
	v_add_co_ci_u32_e64 v33, s0, s7, v21, s0
	s_clause 0x1
	global_store_b64 v[20:21], v[26:27], off
	global_store_b64 v[32:33], v[14:15], off
	v_mul_f64_e32 v[38:39], s[2:3], v[38:39]
	v_mul_f64_e32 v[10:11], s[2:3], v[10:11]
	v_mad_co_u64_u32 v[22:23], null, s5, v139, v[7:8]
	v_mul_f64_e32 v[23:24], s[2:3], v[30:31]
	v_mul_f64_e32 v[30:31], s[2:3], v[34:35]
	;; [unrolled: 1-line block ×3, first 2 shown]
	v_mad_co_u64_u32 v[36:37], null, s4, v140, 0
	v_mul_f64_e32 v[8:9], s[2:3], v[8:9]
	v_mov_b32_e32 v7, v22
	v_mul_f64_e32 v[12:13], s[2:3], v[12:13]
	v_mul_f64_e32 v[40:41], s[2:3], v[40:41]
	;; [unrolled: 1-line block ×3, first 2 shown]
	s_delay_alu instid0(VALU_DEP_4) | instskip(SKIP_1) | instid1(VALU_DEP_2)
	v_lshlrev_b64_e32 v[6:7], 3, v[6:7]
	v_mov_b32_e32 v14, v37
	v_add_co_u32 v6, s0, v44, v6
	s_wait_alu 0xf1ff
	s_delay_alu instid0(VALU_DEP_3)
	v_add_co_ci_u32_e64 v7, s0, v45, v7, s0
	global_store_b64 v[6:7], v[16:17], off
	v_cvt_f32_f64_e32 v7, v[0:1]
	v_mad_co_u64_u32 v[0:1], null, s5, v140, v[14:15]
	v_cvt_f32_f64_e32 v1, v[2:3]
	v_cvt_f32_f64_e32 v6, v[18:19]
	;; [unrolled: 1-line block ×4, first 2 shown]
	v_mad_co_u64_u32 v[14:15], null, s4, v142, 0
	v_mov_b32_e32 v37, v0
	v_add_co_u32 v16, s0, v32, s8
	s_wait_alu 0xf1ff
	v_add_co_ci_u32_e64 v17, s0, s9, v33, s0
	v_cvt_f32_f64_e32 v2, v[23:24]
	v_mov_b32_e32 v0, v15
	v_mad_co_u64_u32 v[22:23], null, s4, v143, 0
	v_cvt_f32_f64_e32 v20, v[30:31]
	v_cvt_f32_f64_e32 v21, v[34:35]
	v_lshlrev_b64_e32 v[18:19], 3, v[36:37]
	v_cvt_f32_f64_e32 v26, v[8:9]
	v_cvt_f32_f64_e32 v8, v[10:11]
	;; [unrolled: 1-line block ×5, first 2 shown]
	v_add_co_u32 v12, s0, v44, v18
	s_wait_alu 0xf1ff
	v_add_co_ci_u32_e64 v13, s0, v45, v19, s0
	v_add_co_u32 v27, s0, v16, s8
	s_wait_alu 0xf1ff
	v_add_co_ci_u32_e64 v28, s0, s9, v17, s0
	v_mad_co_u64_u32 v[24:25], null, s5, v142, v[0:1]
	v_cvt_f32_f64_e32 v25, v[38:39]
	v_mov_b32_e32 v0, v23
	s_clause 0x2
	global_store_b64 v[16:17], v[6:7], off
	global_store_b64 v[12:13], v[1:2], off
	;; [unrolled: 1-line block ×3, first 2 shown]
	v_mov_b32_e32 v15, v24
	v_mad_co_u64_u32 v[18:19], null, s5, v143, v[0:1]
	s_delay_alu instid0(VALU_DEP_2) | instskip(NEXT) | instid1(VALU_DEP_2)
	v_lshlrev_b64_e32 v[5:6], 3, v[14:15]
	v_mov_b32_e32 v23, v18
	s_delay_alu instid0(VALU_DEP_2) | instskip(SKIP_1) | instid1(VALU_DEP_3)
	v_add_co_u32 v2, s0, v44, v5
	s_wait_alu 0xf1ff
	v_add_co_ci_u32_e64 v3, s0, v45, v6, s0
	s_delay_alu instid0(VALU_DEP_3) | instskip(SKIP_3) | instid1(VALU_DEP_3)
	v_lshlrev_b64_e32 v[0:1], 3, v[22:23]
	v_add_co_u32 v4, s0, v27, s8
	s_wait_alu 0xf1ff
	v_add_co_ci_u32_e64 v5, s0, s9, v28, s0
	v_add_co_u32 v6, s0, v44, v0
	s_wait_alu 0xf1ff
	v_add_co_ci_u32_e64 v7, s0, v45, v1, s0
	;; [unrolled: 3-line block ×3, first 2 shown]
	s_clause 0x2
	global_store_b64 v[2:3], v[20:21], off
	global_store_b64 v[4:5], v[25:26], off
	;; [unrolled: 1-line block ×4, first 2 shown]
	s_and_b32 exec_lo, exec_lo, vcc_lo
	s_cbranch_execz .LBB0_23
; %bb.22:
	global_load_b64 v[6:7], v[88:89], off offset:960
	v_add_nc_u32_e32 v8, 0x1c0, v144
	v_mad_co_u64_u32 v[0:1], null, 0xffffcdc0, s4, v[0:1]
	s_mul_i32 s0, s5, 0xffffcdc0
	ds_load_2addr_stride64_b64 v[2:5], v8 offset0:1 offset1:4
	s_wait_alu 0xfffe
	s_sub_co_i32 s0, s0, s4
	s_wait_alu 0xfffe
	v_add_nc_u32_e32 v1, s0, v1
	s_wait_loadcnt_dscnt 0x0
	v_mul_f32_e32 v9, v3, v7
	v_mul_f32_e32 v7, v2, v7
	s_delay_alu instid0(VALU_DEP_2) | instskip(NEXT) | instid1(VALU_DEP_2)
	v_fmac_f32_e32 v9, v2, v6
	v_fma_f32 v6, v6, v3, -v7
	s_delay_alu instid0(VALU_DEP_2) | instskip(NEXT) | instid1(VALU_DEP_2)
	v_cvt_f64_f32_e32 v[2:3], v9
	v_cvt_f64_f32_e32 v[6:7], v6
	s_delay_alu instid0(VALU_DEP_2) | instskip(NEXT) | instid1(VALU_DEP_2)
	v_mul_f64_e32 v[2:3], s[2:3], v[2:3]
	v_mul_f64_e32 v[6:7], s[2:3], v[6:7]
	s_delay_alu instid0(VALU_DEP_2) | instskip(NEXT) | instid1(VALU_DEP_2)
	v_cvt_f32_f64_e32 v2, v[2:3]
	v_cvt_f32_f64_e32 v3, v[6:7]
	global_store_b64 v[0:1], v[2:3], off
	global_load_b64 v[2:3], v[88:89], off offset:2496
	s_wait_loadcnt 0x0
	v_mul_f32_e32 v6, v5, v3
	v_mul_f32_e32 v3, v4, v3
	s_delay_alu instid0(VALU_DEP_2) | instskip(NEXT) | instid1(VALU_DEP_2)
	v_fmac_f32_e32 v6, v4, v2
	v_fma_f32 v4, v2, v5, -v3
	s_delay_alu instid0(VALU_DEP_2) | instskip(NEXT) | instid1(VALU_DEP_2)
	v_cvt_f64_f32_e32 v[2:3], v6
	v_cvt_f64_f32_e32 v[4:5], v4
	s_delay_alu instid0(VALU_DEP_2) | instskip(NEXT) | instid1(VALU_DEP_2)
	v_mul_f64_e32 v[2:3], s[2:3], v[2:3]
	v_mul_f64_e32 v[4:5], s[2:3], v[4:5]
	s_delay_alu instid0(VALU_DEP_2) | instskip(NEXT) | instid1(VALU_DEP_2)
	v_cvt_f32_f64_e32 v2, v[2:3]
	v_cvt_f32_f64_e32 v3, v[4:5]
	v_add_co_u32 v4, vcc_lo, v0, s6
	s_wait_alu 0xfffd
	v_add_co_ci_u32_e32 v5, vcc_lo, s7, v1, vcc_lo
	global_store_b64 v[4:5], v[2:3], off
	global_load_b64 v[6:7], v[88:89], off offset:4032
	ds_load_2addr_stride64_b64 v[0:3], v8 offset0:7 offset1:10
	v_add_co_u32 v4, vcc_lo, v4, s6
	s_wait_alu 0xfffd
	v_add_co_ci_u32_e32 v5, vcc_lo, s7, v5, vcc_lo
	s_wait_loadcnt_dscnt 0x0
	v_mul_f32_e32 v9, v1, v7
	v_mul_f32_e32 v7, v0, v7
	s_delay_alu instid0(VALU_DEP_2) | instskip(NEXT) | instid1(VALU_DEP_2)
	v_fmac_f32_e32 v9, v0, v6
	v_fma_f32 v6, v6, v1, -v7
	s_delay_alu instid0(VALU_DEP_2) | instskip(NEXT) | instid1(VALU_DEP_2)
	v_cvt_f64_f32_e32 v[0:1], v9
	v_cvt_f64_f32_e32 v[6:7], v6
	s_delay_alu instid0(VALU_DEP_2) | instskip(NEXT) | instid1(VALU_DEP_2)
	v_mul_f64_e32 v[0:1], s[2:3], v[0:1]
	v_mul_f64_e32 v[6:7], s[2:3], v[6:7]
	s_delay_alu instid0(VALU_DEP_2) | instskip(NEXT) | instid1(VALU_DEP_2)
	v_cvt_f32_f64_e32 v0, v[0:1]
	v_cvt_f32_f64_e32 v1, v[6:7]
	global_store_b64 v[4:5], v[0:1], off
	global_load_b64 v[0:1], v[88:89], off offset:5568
	v_add_co_u32 v4, vcc_lo, v4, s6
	s_wait_alu 0xfffd
	v_add_co_ci_u32_e32 v5, vcc_lo, s7, v5, vcc_lo
	s_wait_loadcnt 0x0
	v_mul_f32_e32 v6, v3, v1
	v_mul_f32_e32 v1, v2, v1
	s_delay_alu instid0(VALU_DEP_2) | instskip(NEXT) | instid1(VALU_DEP_2)
	v_fmac_f32_e32 v6, v2, v0
	v_fma_f32 v2, v0, v3, -v1
	s_delay_alu instid0(VALU_DEP_2) | instskip(NEXT) | instid1(VALU_DEP_2)
	v_cvt_f64_f32_e32 v[0:1], v6
	v_cvt_f64_f32_e32 v[2:3], v2
	s_delay_alu instid0(VALU_DEP_2) | instskip(NEXT) | instid1(VALU_DEP_2)
	v_mul_f64_e32 v[0:1], s[2:3], v[0:1]
	v_mul_f64_e32 v[2:3], s[2:3], v[2:3]
	s_delay_alu instid0(VALU_DEP_2) | instskip(NEXT) | instid1(VALU_DEP_2)
	v_cvt_f32_f64_e32 v0, v[0:1]
	v_cvt_f32_f64_e32 v1, v[2:3]
	global_store_b64 v[4:5], v[0:1], off
	global_load_b64 v[6:7], v[88:89], off offset:7104
	ds_load_2addr_stride64_b64 v[0:3], v8 offset0:13 offset1:16
	v_add_co_u32 v4, vcc_lo, v4, s6
	s_wait_alu 0xfffd
	v_add_co_ci_u32_e32 v5, vcc_lo, s7, v5, vcc_lo
	s_wait_loadcnt_dscnt 0x0
	v_mul_f32_e32 v9, v1, v7
	v_mul_f32_e32 v7, v0, v7
	s_delay_alu instid0(VALU_DEP_2) | instskip(NEXT) | instid1(VALU_DEP_2)
	v_fmac_f32_e32 v9, v0, v6
	v_fma_f32 v6, v6, v1, -v7
	s_delay_alu instid0(VALU_DEP_2) | instskip(NEXT) | instid1(VALU_DEP_2)
	v_cvt_f64_f32_e32 v[0:1], v9
	v_cvt_f64_f32_e32 v[6:7], v6
	s_delay_alu instid0(VALU_DEP_2) | instskip(NEXT) | instid1(VALU_DEP_2)
	v_mul_f64_e32 v[0:1], s[2:3], v[0:1]
	v_mul_f64_e32 v[6:7], s[2:3], v[6:7]
	s_delay_alu instid0(VALU_DEP_2) | instskip(NEXT) | instid1(VALU_DEP_2)
	v_cvt_f32_f64_e32 v0, v[0:1]
	v_cvt_f32_f64_e32 v1, v[6:7]
	global_store_b64 v[4:5], v[0:1], off
	global_load_b64 v[0:1], v[88:89], off offset:8640
	v_add_co_u32 v4, vcc_lo, v4, s6
	s_wait_alu 0xfffd
	v_add_co_ci_u32_e32 v5, vcc_lo, s7, v5, vcc_lo
	s_wait_loadcnt 0x0
	v_mul_f32_e32 v6, v3, v1
	v_mul_f32_e32 v1, v2, v1
	s_delay_alu instid0(VALU_DEP_2) | instskip(NEXT) | instid1(VALU_DEP_2)
	v_fmac_f32_e32 v6, v2, v0
	v_fma_f32 v2, v0, v3, -v1
	s_delay_alu instid0(VALU_DEP_2) | instskip(NEXT) | instid1(VALU_DEP_2)
	v_cvt_f64_f32_e32 v[0:1], v6
	v_cvt_f64_f32_e32 v[2:3], v2
	s_delay_alu instid0(VALU_DEP_2) | instskip(NEXT) | instid1(VALU_DEP_2)
	v_mul_f64_e32 v[0:1], s[2:3], v[0:1]
	v_mul_f64_e32 v[2:3], s[2:3], v[2:3]
	s_delay_alu instid0(VALU_DEP_2) | instskip(NEXT) | instid1(VALU_DEP_2)
	v_cvt_f32_f64_e32 v0, v[0:1]
	v_cvt_f32_f64_e32 v1, v[2:3]
	;; [unrolled: 41-line block ×3, first 2 shown]
	global_store_b64 v[4:5], v[0:1], off
	global_load_b64 v[6:7], v[88:89], off offset:13248
	ds_load_2addr_stride64_b64 v[0:3], v8 offset0:25 offset1:28
	v_add_co_u32 v4, vcc_lo, v4, s6
	s_wait_alu 0xfffd
	v_add_co_ci_u32_e32 v5, vcc_lo, s7, v5, vcc_lo
	s_wait_loadcnt_dscnt 0x0
	v_mul_f32_e32 v8, v1, v7
	v_mul_f32_e32 v7, v0, v7
	s_delay_alu instid0(VALU_DEP_2) | instskip(NEXT) | instid1(VALU_DEP_2)
	v_fmac_f32_e32 v8, v0, v6
	v_fma_f32 v6, v6, v1, -v7
	s_delay_alu instid0(VALU_DEP_2) | instskip(NEXT) | instid1(VALU_DEP_2)
	v_cvt_f64_f32_e32 v[0:1], v8
	v_cvt_f64_f32_e32 v[6:7], v6
	s_delay_alu instid0(VALU_DEP_2) | instskip(NEXT) | instid1(VALU_DEP_2)
	v_mul_f64_e32 v[0:1], s[2:3], v[0:1]
	v_mul_f64_e32 v[6:7], s[2:3], v[6:7]
	s_delay_alu instid0(VALU_DEP_2) | instskip(NEXT) | instid1(VALU_DEP_2)
	v_cvt_f32_f64_e32 v0, v[0:1]
	v_cvt_f32_f64_e32 v1, v[6:7]
	global_store_b64 v[4:5], v[0:1], off
	global_load_b64 v[0:1], v[88:89], off offset:14784
	s_wait_loadcnt 0x0
	v_mul_f32_e32 v6, v3, v1
	v_mul_f32_e32 v1, v2, v1
	s_delay_alu instid0(VALU_DEP_2) | instskip(NEXT) | instid1(VALU_DEP_2)
	v_fmac_f32_e32 v6, v2, v0
	v_fma_f32 v2, v0, v3, -v1
	s_delay_alu instid0(VALU_DEP_2) | instskip(NEXT) | instid1(VALU_DEP_2)
	v_cvt_f64_f32_e32 v[0:1], v6
	v_cvt_f64_f32_e32 v[2:3], v2
	s_delay_alu instid0(VALU_DEP_2) | instskip(NEXT) | instid1(VALU_DEP_2)
	v_mul_f64_e32 v[0:1], s[2:3], v[0:1]
	v_mul_f64_e32 v[2:3], s[2:3], v[2:3]
	s_delay_alu instid0(VALU_DEP_2) | instskip(NEXT) | instid1(VALU_DEP_2)
	v_cvt_f32_f64_e32 v0, v[0:1]
	v_cvt_f32_f64_e32 v1, v[2:3]
	v_add_co_u32 v2, vcc_lo, v4, s6
	s_wait_alu 0xfffd
	v_add_co_ci_u32_e32 v3, vcc_lo, s7, v5, vcc_lo
	global_store_b64 v[2:3], v[0:1], off
.LBB0_23:
	s_nop 0
	s_sendmsg sendmsg(MSG_DEALLOC_VGPRS)
	s_endpgm
	.section	.rodata,"a",@progbits
	.p2align	6, 0x0
	.amdhsa_kernel bluestein_single_fwd_len1920_dim1_sp_op_CI_CI
		.amdhsa_group_segment_fixed_size 30720
		.amdhsa_private_segment_fixed_size 0
		.amdhsa_kernarg_size 104
		.amdhsa_user_sgpr_count 2
		.amdhsa_user_sgpr_dispatch_ptr 0
		.amdhsa_user_sgpr_queue_ptr 0
		.amdhsa_user_sgpr_kernarg_segment_ptr 1
		.amdhsa_user_sgpr_dispatch_id 0
		.amdhsa_user_sgpr_private_segment_size 0
		.amdhsa_wavefront_size32 1
		.amdhsa_uses_dynamic_stack 0
		.amdhsa_enable_private_segment 0
		.amdhsa_system_sgpr_workgroup_id_x 1
		.amdhsa_system_sgpr_workgroup_id_y 0
		.amdhsa_system_sgpr_workgroup_id_z 0
		.amdhsa_system_sgpr_workgroup_info 0
		.amdhsa_system_vgpr_workitem_id 0
		.amdhsa_next_free_vgpr 185
		.amdhsa_next_free_sgpr 18
		.amdhsa_reserve_vcc 1
		.amdhsa_float_round_mode_32 0
		.amdhsa_float_round_mode_16_64 0
		.amdhsa_float_denorm_mode_32 3
		.amdhsa_float_denorm_mode_16_64 3
		.amdhsa_fp16_overflow 0
		.amdhsa_workgroup_processor_mode 1
		.amdhsa_memory_ordered 1
		.amdhsa_forward_progress 0
		.amdhsa_round_robin_scheduling 0
		.amdhsa_exception_fp_ieee_invalid_op 0
		.amdhsa_exception_fp_denorm_src 0
		.amdhsa_exception_fp_ieee_div_zero 0
		.amdhsa_exception_fp_ieee_overflow 0
		.amdhsa_exception_fp_ieee_underflow 0
		.amdhsa_exception_fp_ieee_inexact 0
		.amdhsa_exception_int_div_zero 0
	.end_amdhsa_kernel
	.text
.Lfunc_end0:
	.size	bluestein_single_fwd_len1920_dim1_sp_op_CI_CI, .Lfunc_end0-bluestein_single_fwd_len1920_dim1_sp_op_CI_CI
                                        ; -- End function
	.section	.AMDGPU.csdata,"",@progbits
; Kernel info:
; codeLenInByte = 17968
; NumSgprs: 20
; NumVgprs: 185
; ScratchSize: 0
; MemoryBound: 0
; FloatMode: 240
; IeeeMode: 1
; LDSByteSize: 30720 bytes/workgroup (compile time only)
; SGPRBlocks: 2
; VGPRBlocks: 23
; NumSGPRsForWavesPerEU: 20
; NumVGPRsForWavesPerEU: 185
; Occupancy: 8
; WaveLimiterHint : 1
; COMPUTE_PGM_RSRC2:SCRATCH_EN: 0
; COMPUTE_PGM_RSRC2:USER_SGPR: 2
; COMPUTE_PGM_RSRC2:TRAP_HANDLER: 0
; COMPUTE_PGM_RSRC2:TGID_X_EN: 1
; COMPUTE_PGM_RSRC2:TGID_Y_EN: 0
; COMPUTE_PGM_RSRC2:TGID_Z_EN: 0
; COMPUTE_PGM_RSRC2:TIDIG_COMP_CNT: 0
	.text
	.p2alignl 7, 3214868480
	.fill 96, 4, 3214868480
	.type	__hip_cuid_632a6a51bfdaed38,@object ; @__hip_cuid_632a6a51bfdaed38
	.section	.bss,"aw",@nobits
	.globl	__hip_cuid_632a6a51bfdaed38
__hip_cuid_632a6a51bfdaed38:
	.byte	0                               ; 0x0
	.size	__hip_cuid_632a6a51bfdaed38, 1

	.ident	"AMD clang version 19.0.0git (https://github.com/RadeonOpenCompute/llvm-project roc-6.4.0 25133 c7fe45cf4b819c5991fe208aaa96edf142730f1d)"
	.section	".note.GNU-stack","",@progbits
	.addrsig
	.addrsig_sym __hip_cuid_632a6a51bfdaed38
	.amdgpu_metadata
---
amdhsa.kernels:
  - .args:
      - .actual_access:  read_only
        .address_space:  global
        .offset:         0
        .size:           8
        .value_kind:     global_buffer
      - .actual_access:  read_only
        .address_space:  global
        .offset:         8
        .size:           8
        .value_kind:     global_buffer
      - .actual_access:  read_only
        .address_space:  global
        .offset:         16
        .size:           8
        .value_kind:     global_buffer
      - .actual_access:  read_only
        .address_space:  global
        .offset:         24
        .size:           8
        .value_kind:     global_buffer
      - .actual_access:  read_only
        .address_space:  global
        .offset:         32
        .size:           8
        .value_kind:     global_buffer
      - .offset:         40
        .size:           8
        .value_kind:     by_value
      - .address_space:  global
        .offset:         48
        .size:           8
        .value_kind:     global_buffer
      - .address_space:  global
        .offset:         56
        .size:           8
        .value_kind:     global_buffer
      - .address_space:  global
        .offset:         64
        .size:           8
        .value_kind:     global_buffer
      - .address_space:  global
        .offset:         72
        .size:           8
        .value_kind:     global_buffer
      - .offset:         80
        .size:           4
        .value_kind:     by_value
      - .address_space:  global
        .offset:         88
        .size:           8
        .value_kind:     global_buffer
      - .address_space:  global
        .offset:         96
        .size:           8
        .value_kind:     global_buffer
    .group_segment_fixed_size: 30720
    .kernarg_segment_align: 8
    .kernarg_segment_size: 104
    .language:       OpenCL C
    .language_version:
      - 2
      - 0
    .max_flat_workgroup_size: 240
    .name:           bluestein_single_fwd_len1920_dim1_sp_op_CI_CI
    .private_segment_fixed_size: 0
    .sgpr_count:     20
    .sgpr_spill_count: 0
    .symbol:         bluestein_single_fwd_len1920_dim1_sp_op_CI_CI.kd
    .uniform_work_group_size: 1
    .uses_dynamic_stack: false
    .vgpr_count:     185
    .vgpr_spill_count: 0
    .wavefront_size: 32
    .workgroup_processor_mode: 1
amdhsa.target:   amdgcn-amd-amdhsa--gfx1201
amdhsa.version:
  - 1
  - 2
...

	.end_amdgpu_metadata
